;; amdgpu-corpus repo=ROCm/rocFFT kind=compiled arch=gfx1201 opt=O3
	.text
	.amdgcn_target "amdgcn-amd-amdhsa--gfx1201"
	.amdhsa_code_object_version 6
	.protected	fft_rtc_fwd_len850_factors_10_5_17_wgs_85_tpt_85_sp_ip_CI_unitstride_sbrr_C2R_dirReg ; -- Begin function fft_rtc_fwd_len850_factors_10_5_17_wgs_85_tpt_85_sp_ip_CI_unitstride_sbrr_C2R_dirReg
	.globl	fft_rtc_fwd_len850_factors_10_5_17_wgs_85_tpt_85_sp_ip_CI_unitstride_sbrr_C2R_dirReg
	.p2align	8
	.type	fft_rtc_fwd_len850_factors_10_5_17_wgs_85_tpt_85_sp_ip_CI_unitstride_sbrr_C2R_dirReg,@function
fft_rtc_fwd_len850_factors_10_5_17_wgs_85_tpt_85_sp_ip_CI_unitstride_sbrr_C2R_dirReg: ; @fft_rtc_fwd_len850_factors_10_5_17_wgs_85_tpt_85_sp_ip_CI_unitstride_sbrr_C2R_dirReg
; %bb.0:
	s_clause 0x2
	s_load_b128 s[4:7], s[0:1], 0x0
	s_load_b64 s[8:9], s[0:1], 0x50
	s_load_b64 s[10:11], s[0:1], 0x18
	v_mul_u32_u24_e32 v1, 0x304, v0
	v_mov_b32_e32 v3, 0
	s_delay_alu instid0(VALU_DEP_2) | instskip(NEXT) | instid1(VALU_DEP_1)
	v_lshrrev_b32_e32 v1, 16, v1
	v_add_nc_u32_e32 v5, ttmp9, v1
	v_mov_b32_e32 v1, 0
	v_mov_b32_e32 v2, 0
	;; [unrolled: 1-line block ×3, first 2 shown]
	s_wait_kmcnt 0x0
	v_cmp_lt_u64_e64 s2, s[6:7], 2
	s_delay_alu instid0(VALU_DEP_1)
	s_and_b32 vcc_lo, exec_lo, s2
	s_cbranch_vccnz .LBB0_8
; %bb.1:
	s_load_b64 s[2:3], s[0:1], 0x10
	v_mov_b32_e32 v1, 0
	v_mov_b32_e32 v2, 0
	s_add_nc_u64 s[12:13], s[10:11], 8
	s_mov_b64 s[14:15], 1
	s_wait_kmcnt 0x0
	s_add_nc_u64 s[16:17], s[2:3], 8
	s_mov_b32 s3, 0
.LBB0_2:                                ; =>This Inner Loop Header: Depth=1
	s_load_b64 s[18:19], s[16:17], 0x0
                                        ; implicit-def: $vgpr7_vgpr8
	s_mov_b32 s2, exec_lo
	s_wait_kmcnt 0x0
	v_or_b32_e32 v4, s19, v6
	s_delay_alu instid0(VALU_DEP_1)
	v_cmpx_ne_u64_e32 0, v[3:4]
	s_wait_alu 0xfffe
	s_xor_b32 s20, exec_lo, s2
	s_cbranch_execz .LBB0_4
; %bb.3:                                ;   in Loop: Header=BB0_2 Depth=1
	s_cvt_f32_u32 s2, s18
	s_cvt_f32_u32 s21, s19
	s_sub_nc_u64 s[24:25], 0, s[18:19]
	s_wait_alu 0xfffe
	s_delay_alu instid0(SALU_CYCLE_1) | instskip(SKIP_1) | instid1(SALU_CYCLE_2)
	s_fmamk_f32 s2, s21, 0x4f800000, s2
	s_wait_alu 0xfffe
	v_s_rcp_f32 s2, s2
	s_delay_alu instid0(TRANS32_DEP_1) | instskip(SKIP_1) | instid1(SALU_CYCLE_2)
	s_mul_f32 s2, s2, 0x5f7ffffc
	s_wait_alu 0xfffe
	s_mul_f32 s21, s2, 0x2f800000
	s_wait_alu 0xfffe
	s_delay_alu instid0(SALU_CYCLE_2) | instskip(SKIP_1) | instid1(SALU_CYCLE_2)
	s_trunc_f32 s21, s21
	s_wait_alu 0xfffe
	s_fmamk_f32 s2, s21, 0xcf800000, s2
	s_cvt_u32_f32 s23, s21
	s_wait_alu 0xfffe
	s_delay_alu instid0(SALU_CYCLE_1) | instskip(SKIP_1) | instid1(SALU_CYCLE_2)
	s_cvt_u32_f32 s22, s2
	s_wait_alu 0xfffe
	s_mul_u64 s[26:27], s[24:25], s[22:23]
	s_wait_alu 0xfffe
	s_mul_hi_u32 s29, s22, s27
	s_mul_i32 s28, s22, s27
	s_mul_hi_u32 s2, s22, s26
	s_mul_i32 s30, s23, s26
	s_wait_alu 0xfffe
	s_add_nc_u64 s[28:29], s[2:3], s[28:29]
	s_mul_hi_u32 s21, s23, s26
	s_mul_hi_u32 s31, s23, s27
	s_add_co_u32 s2, s28, s30
	s_wait_alu 0xfffe
	s_add_co_ci_u32 s2, s29, s21
	s_mul_i32 s26, s23, s27
	s_add_co_ci_u32 s27, s31, 0
	s_wait_alu 0xfffe
	s_add_nc_u64 s[26:27], s[2:3], s[26:27]
	s_wait_alu 0xfffe
	v_add_co_u32 v4, s2, s22, s26
	s_delay_alu instid0(VALU_DEP_1) | instskip(SKIP_1) | instid1(VALU_DEP_1)
	s_cmp_lg_u32 s2, 0
	s_add_co_ci_u32 s23, s23, s27
	v_readfirstlane_b32 s22, v4
	s_wait_alu 0xfffe
	s_delay_alu instid0(VALU_DEP_1)
	s_mul_u64 s[24:25], s[24:25], s[22:23]
	s_wait_alu 0xfffe
	s_mul_hi_u32 s27, s22, s25
	s_mul_i32 s26, s22, s25
	s_mul_hi_u32 s2, s22, s24
	s_mul_i32 s28, s23, s24
	s_wait_alu 0xfffe
	s_add_nc_u64 s[26:27], s[2:3], s[26:27]
	s_mul_hi_u32 s21, s23, s24
	s_mul_hi_u32 s22, s23, s25
	s_wait_alu 0xfffe
	s_add_co_u32 s2, s26, s28
	s_add_co_ci_u32 s2, s27, s21
	s_mul_i32 s24, s23, s25
	s_add_co_ci_u32 s25, s22, 0
	s_wait_alu 0xfffe
	s_add_nc_u64 s[24:25], s[2:3], s[24:25]
	s_wait_alu 0xfffe
	v_add_co_u32 v4, s2, v4, s24
	s_delay_alu instid0(VALU_DEP_1) | instskip(SKIP_1) | instid1(VALU_DEP_1)
	s_cmp_lg_u32 s2, 0
	s_add_co_ci_u32 s2, s23, s25
	v_mul_hi_u32 v13, v5, v4
	s_wait_alu 0xfffe
	v_mad_co_u64_u32 v[7:8], null, v5, s2, 0
	v_mad_co_u64_u32 v[9:10], null, v6, v4, 0
	;; [unrolled: 1-line block ×3, first 2 shown]
	s_delay_alu instid0(VALU_DEP_3) | instskip(SKIP_1) | instid1(VALU_DEP_4)
	v_add_co_u32 v4, vcc_lo, v13, v7
	s_wait_alu 0xfffd
	v_add_co_ci_u32_e32 v7, vcc_lo, 0, v8, vcc_lo
	s_delay_alu instid0(VALU_DEP_2) | instskip(SKIP_1) | instid1(VALU_DEP_2)
	v_add_co_u32 v4, vcc_lo, v4, v9
	s_wait_alu 0xfffd
	v_add_co_ci_u32_e32 v4, vcc_lo, v7, v10, vcc_lo
	s_wait_alu 0xfffd
	v_add_co_ci_u32_e32 v7, vcc_lo, 0, v12, vcc_lo
	s_delay_alu instid0(VALU_DEP_2) | instskip(SKIP_1) | instid1(VALU_DEP_2)
	v_add_co_u32 v4, vcc_lo, v4, v11
	s_wait_alu 0xfffd
	v_add_co_ci_u32_e32 v9, vcc_lo, 0, v7, vcc_lo
	s_delay_alu instid0(VALU_DEP_2) | instskip(SKIP_1) | instid1(VALU_DEP_3)
	v_mul_lo_u32 v10, s19, v4
	v_mad_co_u64_u32 v[7:8], null, s18, v4, 0
	v_mul_lo_u32 v11, s18, v9
	s_delay_alu instid0(VALU_DEP_2) | instskip(NEXT) | instid1(VALU_DEP_2)
	v_sub_co_u32 v7, vcc_lo, v5, v7
	v_add3_u32 v8, v8, v11, v10
	s_delay_alu instid0(VALU_DEP_1) | instskip(SKIP_1) | instid1(VALU_DEP_1)
	v_sub_nc_u32_e32 v10, v6, v8
	s_wait_alu 0xfffd
	v_subrev_co_ci_u32_e64 v10, s2, s19, v10, vcc_lo
	v_add_co_u32 v11, s2, v4, 2
	s_wait_alu 0xf1ff
	v_add_co_ci_u32_e64 v12, s2, 0, v9, s2
	v_sub_co_u32 v13, s2, v7, s18
	v_sub_co_ci_u32_e32 v8, vcc_lo, v6, v8, vcc_lo
	s_wait_alu 0xf1ff
	v_subrev_co_ci_u32_e64 v10, s2, 0, v10, s2
	s_delay_alu instid0(VALU_DEP_3) | instskip(NEXT) | instid1(VALU_DEP_3)
	v_cmp_le_u32_e32 vcc_lo, s18, v13
	v_cmp_eq_u32_e64 s2, s19, v8
	s_wait_alu 0xfffd
	v_cndmask_b32_e64 v13, 0, -1, vcc_lo
	v_cmp_le_u32_e32 vcc_lo, s19, v10
	s_wait_alu 0xfffd
	v_cndmask_b32_e64 v14, 0, -1, vcc_lo
	v_cmp_le_u32_e32 vcc_lo, s18, v7
	;; [unrolled: 3-line block ×3, first 2 shown]
	s_wait_alu 0xfffd
	v_cndmask_b32_e64 v15, 0, -1, vcc_lo
	v_cmp_eq_u32_e32 vcc_lo, s19, v10
	s_wait_alu 0xf1ff
	s_delay_alu instid0(VALU_DEP_2)
	v_cndmask_b32_e64 v7, v15, v7, s2
	s_wait_alu 0xfffd
	v_cndmask_b32_e32 v10, v14, v13, vcc_lo
	v_add_co_u32 v13, vcc_lo, v4, 1
	s_wait_alu 0xfffd
	v_add_co_ci_u32_e32 v14, vcc_lo, 0, v9, vcc_lo
	s_delay_alu instid0(VALU_DEP_3) | instskip(SKIP_2) | instid1(VALU_DEP_3)
	v_cmp_ne_u32_e32 vcc_lo, 0, v10
	s_wait_alu 0xfffd
	v_cndmask_b32_e32 v10, v13, v11, vcc_lo
	v_cndmask_b32_e32 v8, v14, v12, vcc_lo
	v_cmp_ne_u32_e32 vcc_lo, 0, v7
	s_wait_alu 0xfffd
	s_delay_alu instid0(VALU_DEP_2)
	v_dual_cndmask_b32 v7, v4, v10 :: v_dual_cndmask_b32 v8, v9, v8
.LBB0_4:                                ;   in Loop: Header=BB0_2 Depth=1
	s_wait_alu 0xfffe
	s_and_not1_saveexec_b32 s2, s20
	s_cbranch_execz .LBB0_6
; %bb.5:                                ;   in Loop: Header=BB0_2 Depth=1
	v_cvt_f32_u32_e32 v4, s18
	s_sub_co_i32 s20, 0, s18
	s_delay_alu instid0(VALU_DEP_1) | instskip(NEXT) | instid1(TRANS32_DEP_1)
	v_rcp_iflag_f32_e32 v4, v4
	v_mul_f32_e32 v4, 0x4f7ffffe, v4
	s_delay_alu instid0(VALU_DEP_1) | instskip(SKIP_1) | instid1(VALU_DEP_1)
	v_cvt_u32_f32_e32 v4, v4
	s_wait_alu 0xfffe
	v_mul_lo_u32 v7, s20, v4
	s_delay_alu instid0(VALU_DEP_1) | instskip(NEXT) | instid1(VALU_DEP_1)
	v_mul_hi_u32 v7, v4, v7
	v_add_nc_u32_e32 v4, v4, v7
	s_delay_alu instid0(VALU_DEP_1) | instskip(NEXT) | instid1(VALU_DEP_1)
	v_mul_hi_u32 v4, v5, v4
	v_mul_lo_u32 v7, v4, s18
	v_add_nc_u32_e32 v8, 1, v4
	s_delay_alu instid0(VALU_DEP_2) | instskip(NEXT) | instid1(VALU_DEP_1)
	v_sub_nc_u32_e32 v7, v5, v7
	v_subrev_nc_u32_e32 v9, s18, v7
	v_cmp_le_u32_e32 vcc_lo, s18, v7
	s_wait_alu 0xfffd
	s_delay_alu instid0(VALU_DEP_2) | instskip(NEXT) | instid1(VALU_DEP_1)
	v_dual_cndmask_b32 v7, v7, v9 :: v_dual_cndmask_b32 v4, v4, v8
	v_cmp_le_u32_e32 vcc_lo, s18, v7
	s_delay_alu instid0(VALU_DEP_2) | instskip(SKIP_1) | instid1(VALU_DEP_1)
	v_add_nc_u32_e32 v8, 1, v4
	s_wait_alu 0xfffd
	v_dual_cndmask_b32 v7, v4, v8 :: v_dual_mov_b32 v8, v3
.LBB0_6:                                ;   in Loop: Header=BB0_2 Depth=1
	s_wait_alu 0xfffe
	s_or_b32 exec_lo, exec_lo, s2
	s_load_b64 s[20:21], s[12:13], 0x0
	s_delay_alu instid0(VALU_DEP_1)
	v_mul_lo_u32 v4, v8, s18
	v_mul_lo_u32 v11, v7, s19
	v_mad_co_u64_u32 v[9:10], null, v7, s18, 0
	s_add_nc_u64 s[14:15], s[14:15], 1
	s_add_nc_u64 s[12:13], s[12:13], 8
	s_wait_alu 0xfffe
	v_cmp_ge_u64_e64 s2, s[14:15], s[6:7]
	s_add_nc_u64 s[16:17], s[16:17], 8
	s_delay_alu instid0(VALU_DEP_2) | instskip(NEXT) | instid1(VALU_DEP_3)
	v_add3_u32 v4, v10, v11, v4
	v_sub_co_u32 v5, vcc_lo, v5, v9
	s_wait_alu 0xfffd
	s_delay_alu instid0(VALU_DEP_2) | instskip(SKIP_3) | instid1(VALU_DEP_2)
	v_sub_co_ci_u32_e32 v4, vcc_lo, v6, v4, vcc_lo
	s_and_b32 vcc_lo, exec_lo, s2
	s_wait_kmcnt 0x0
	v_mul_lo_u32 v6, s21, v5
	v_mul_lo_u32 v4, s20, v4
	v_mad_co_u64_u32 v[1:2], null, s20, v5, v[1:2]
	s_delay_alu instid0(VALU_DEP_1)
	v_add3_u32 v2, v6, v2, v4
	s_wait_alu 0xfffe
	s_cbranch_vccnz .LBB0_9
; %bb.7:                                ;   in Loop: Header=BB0_2 Depth=1
	v_dual_mov_b32 v5, v7 :: v_dual_mov_b32 v6, v8
	s_branch .LBB0_2
.LBB0_8:
	v_dual_mov_b32 v8, v6 :: v_dual_mov_b32 v7, v5
.LBB0_9:
	s_lshl_b64 s[2:3], s[6:7], 3
	v_mul_hi_u32 v5, 0x3030304, v0
	s_wait_alu 0xfffe
	s_add_nc_u64 s[2:3], s[10:11], s[2:3]
	s_load_b64 s[2:3], s[2:3], 0x0
	s_load_b64 s[0:1], s[0:1], 0x20
	s_wait_kmcnt 0x0
	v_mul_lo_u32 v3, s2, v8
	v_mul_lo_u32 v4, s3, v7
	v_mad_co_u64_u32 v[1:2], null, s2, v7, v[1:2]
	v_cmp_gt_u64_e32 vcc_lo, s[0:1], v[7:8]
	s_delay_alu instid0(VALU_DEP_2) | instskip(SKIP_1) | instid1(VALU_DEP_2)
	v_add3_u32 v2, v4, v2, v3
	v_mul_u32_u24_e32 v3, 0x55, v5
	v_lshlrev_b64_e32 v[36:37], 3, v[1:2]
	s_delay_alu instid0(VALU_DEP_2)
	v_sub_nc_u32_e32 v34, v0, v3
	s_and_saveexec_b32 s1, vcc_lo
	s_cbranch_execz .LBB0_13
; %bb.10:
	s_delay_alu instid0(VALU_DEP_1)
	v_lshl_add_u32 v22, v34, 3, 0
	v_mov_b32_e32 v35, 0
	v_add_co_u32 v0, s0, s8, v36
	s_wait_alu 0xf1ff
	v_add_co_ci_u32_e64 v1, s0, s9, v37, s0
	v_add_nc_u32_e32 v24, 0xc00, v22
	v_lshlrev_b64_e32 v[2:3], 3, v[34:35]
	v_add_nc_u32_e32 v23, 0x800, v22
	s_mov_b32 s2, exec_lo
	v_add_nc_u32_e32 v25, 0x1000, v22
	s_delay_alu instid0(VALU_DEP_3)
	v_add_co_u32 v2, s0, v0, v2
	s_wait_alu 0xf1ff
	v_add_co_ci_u32_e64 v3, s0, v1, v3, s0
	s_clause 0x9
	global_load_b64 v[4:5], v[2:3], off
	global_load_b64 v[6:7], v[2:3], off offset:680
	global_load_b64 v[8:9], v[2:3], off offset:1360
	;; [unrolled: 1-line block ×9, first 2 shown]
	s_wait_loadcnt 0x8
	ds_store_2addr_b64 v22, v[4:5], v[6:7] offset1:85
	s_wait_loadcnt 0x6
	ds_store_2addr_b64 v22, v[8:9], v[10:11] offset0:170 offset1:255
	s_wait_loadcnt 0x4
	ds_store_2addr_b64 v23, v[12:13], v[14:15] offset0:84 offset1:169
	;; [unrolled: 2-line block ×4, first 2 shown]
	v_cmpx_eq_u32_e32 0x54, v34
	s_cbranch_execz .LBB0_12
; %bb.11:
	global_load_b64 v[0:1], v[0:1], off offset:6800
	v_mov_b32_e32 v34, 0x54
	s_wait_loadcnt 0x0
	ds_store_b64 v35, v[0:1] offset:6800
.LBB0_12:
	s_wait_alu 0xfffe
	s_or_b32 exec_lo, exec_lo, s2
.LBB0_13:
	s_wait_alu 0xfffe
	s_or_b32 exec_lo, exec_lo, s1
	v_lshlrev_b32_e32 v0, 3, v34
	global_wb scope:SCOPE_SE
	s_wait_dscnt 0x0
	s_barrier_signal -1
	s_barrier_wait -1
	global_inv scope:SCOPE_SE
	v_add_nc_u32_e32 v40, 0, v0
	v_sub_nc_u32_e32 v4, 0, v0
	s_mov_b32 s1, exec_lo
                                        ; implicit-def: $vgpr2_vgpr3
	ds_load_b32 v5, v40
	ds_load_b32 v6, v4 offset:6800
	s_wait_dscnt 0x0
	v_dual_sub_f32 v1, v5, v6 :: v_dual_add_f32 v0, v6, v5
	v_cmpx_ne_u32_e32 0, v34
	s_wait_alu 0xfffe
	s_xor_b32 s1, exec_lo, s1
	s_cbranch_execz .LBB0_15
; %bb.14:
	v_dual_mov_b32 v35, 0 :: v_dual_sub_f32 v8, v5, v6
	s_delay_alu instid0(VALU_DEP_1) | instskip(NEXT) | instid1(VALU_DEP_1)
	v_lshlrev_b64_e32 v[0:1], 3, v[34:35]
	v_add_co_u32 v0, s0, s4, v0
	s_wait_alu 0xf1ff
	s_delay_alu instid0(VALU_DEP_2)
	v_add_co_ci_u32_e64 v1, s0, s5, v1, s0
	global_load_b64 v[2:3], v[0:1], off offset:6720
	ds_load_b32 v0, v4 offset:6804
	ds_load_b32 v1, v40 offset:4
	v_add_f32_e32 v7, v6, v5
	s_wait_dscnt 0x0
	v_dual_add_f32 v9, v0, v1 :: v_dual_sub_f32 v0, v1, v0
	s_wait_loadcnt 0x0
	s_delay_alu instid0(VALU_DEP_2) | instskip(NEXT) | instid1(VALU_DEP_2)
	v_fma_f32 v5, -v8, v3, v7
	v_fma_f32 v6, v9, v3, -v0
	v_fma_f32 v10, v8, v3, v7
	v_fma_f32 v1, v9, v3, v0
	s_delay_alu instid0(VALU_DEP_3) | instskip(NEXT) | instid1(VALU_DEP_3)
	v_dual_fmac_f32 v5, v2, v9 :: v_dual_fmac_f32 v6, v8, v2
	v_fma_f32 v0, -v2, v9, v10
	s_delay_alu instid0(VALU_DEP_3)
	v_dual_fmac_f32 v1, v8, v2 :: v_dual_mov_b32 v2, v34
	v_mov_b32_e32 v3, v35
	ds_store_b64 v4, v[5:6] offset:6800
.LBB0_15:
	s_wait_alu 0xfffe
	s_and_not1_saveexec_b32 s0, s1
	s_cbranch_execz .LBB0_17
; %bb.16:
	v_mov_b32_e32 v7, 0
	ds_load_b64 v[2:3], v7 offset:3400
	s_wait_dscnt 0x0
	v_dual_mul_f32 v6, -2.0, v3 :: v_dual_add_f32 v5, v2, v2
	v_mov_b32_e32 v2, 0
	v_mov_b32_e32 v3, 0
	ds_store_b64 v7, v[5:6] offset:3400
.LBB0_17:
	s_wait_alu 0xfffe
	s_or_b32 exec_lo, exec_lo, s0
	v_lshlrev_b64_e32 v[2:3], 3, v[2:3]
	s_add_nc_u64 s[0:1], s[4:5], 0x1a40
	v_add_nc_u16 v20, v34, 0x55
	v_add_nc_u32_e32 v22, 0x800, v40
	v_add_nc_u32_e32 v23, 0xc00, v40
	v_add_nc_u32_e32 v30, 0x1000, v40
	s_wait_alu 0xfffe
	v_add_co_u32 v2, s0, s0, v2
	s_wait_alu 0xf1ff
	v_add_co_ci_u32_e64 v3, s0, s1, v3, s0
	s_clause 0x3
	global_load_b64 v[5:6], v[2:3], off offset:680
	global_load_b64 v[7:8], v[2:3], off offset:1360
	;; [unrolled: 1-line block ×4, first 2 shown]
	ds_store_b64 v40, v[0:1]
	ds_load_b64 v[0:1], v40 offset:680
	ds_load_b64 v[11:12], v4 offset:6120
	v_cmp_gt_u32_e64 s0, 50, v34
	s_wait_dscnt 0x0
	v_add_f32_e32 v13, v0, v11
	v_add_f32_e32 v14, v12, v1
	v_dual_sub_f32 v15, v0, v11 :: v_dual_sub_f32 v0, v1, v12
	s_wait_loadcnt 0x3
	s_delay_alu instid0(VALU_DEP_1) | instskip(NEXT) | instid1(VALU_DEP_2)
	v_fma_f32 v16, v15, v6, v13
	v_fma_f32 v1, v14, v6, v0
	v_fma_f32 v11, -v15, v6, v13
	v_fma_f32 v12, v14, v6, -v0
	s_delay_alu instid0(VALU_DEP_4) | instskip(NEXT) | instid1(VALU_DEP_4)
	v_fma_f32 v0, -v5, v14, v16
	v_fmac_f32_e32 v1, v15, v5
	s_delay_alu instid0(VALU_DEP_3)
	v_dual_fmac_f32 v11, v5, v14 :: v_dual_fmac_f32 v12, v15, v5
	ds_store_b64 v40, v[0:1] offset:680
	ds_store_b64 v4, v[11:12] offset:6120
	ds_load_b64 v[0:1], v40 offset:1360
	ds_load_b64 v[5:6], v4 offset:5440
	s_wait_dscnt 0x0
	v_add_f32_e32 v11, v0, v5
	v_add_f32_e32 v12, v6, v1
	v_dual_sub_f32 v13, v0, v5 :: v_dual_sub_f32 v0, v1, v6
	s_wait_loadcnt 0x2
	s_delay_alu instid0(VALU_DEP_1) | instskip(NEXT) | instid1(VALU_DEP_2)
	v_fma_f32 v14, v13, v8, v11
	v_fma_f32 v1, v12, v8, v0
	v_fma_f32 v5, -v13, v8, v11
	v_fma_f32 v6, v12, v8, -v0
	s_delay_alu instid0(VALU_DEP_4) | instskip(NEXT) | instid1(VALU_DEP_4)
	v_fma_f32 v0, -v7, v12, v14
	v_fmac_f32_e32 v1, v13, v7
	s_delay_alu instid0(VALU_DEP_3)
	v_dual_fmac_f32 v5, v7, v12 :: v_dual_fmac_f32 v6, v13, v7
	ds_store_b64 v40, v[0:1] offset:1360
	ds_store_b64 v4, v[5:6] offset:5440
	ds_load_b64 v[0:1], v40 offset:2040
	ds_load_b64 v[5:6], v4 offset:4760
	;; [unrolled: 19-line block ×3, first 2 shown]
	v_and_b32_e32 v7, 0xff, v34
	s_wait_dscnt 0x0
	v_dual_add_f32 v8, v0, v5 :: v_dual_and_b32 v11, 0xff, v20
	s_delay_alu instid0(VALU_DEP_2) | instskip(SKIP_3) | instid1(VALU_DEP_4)
	v_mul_lo_u16 v7, 0xcd, v7
	v_add_f32_e32 v9, v6, v1
	v_sub_f32_e32 v10, v0, v5
	v_sub_f32_e32 v0, v1, v6
	v_lshrrev_b16 v24, 11, v7
	s_wait_loadcnt 0x0
	s_delay_alu instid0(VALU_DEP_3) | instskip(NEXT) | instid1(VALU_DEP_3)
	v_fma_f32 v7, v10, v3, v8
	v_fma_f32 v1, v9, v3, v0
	v_fma_f32 v5, -v10, v3, v8
	v_fma_f32 v6, v9, v3, -v0
	v_mul_lo_u16 v3, 0xcd, v11
	v_fma_f32 v0, -v2, v9, v7
	v_fmac_f32_e32 v1, v10, v2
	v_fmac_f32_e32 v5, v2, v9
	;; [unrolled: 1-line block ×3, first 2 shown]
	v_lshrrev_b16 v28, 11, v3
	ds_store_b64 v40, v[0:1] offset:2720
	ds_store_b64 v4, v[5:6] offset:4080
	global_wb scope:SCOPE_SE
	s_wait_dscnt 0x0
	s_barrier_signal -1
	s_barrier_wait -1
	global_inv scope:SCOPE_SE
	global_wb scope:SCOPE_SE
	s_barrier_signal -1
	s_barrier_wait -1
	global_inv scope:SCOPE_SE
	ds_load_2addr_b64 v[0:3], v40 offset1:85
	ds_load_2addr_b64 v[4:7], v40 offset0:170 offset1:255
	ds_load_2addr_b64 v[8:11], v22 offset0:84 offset1:169
	;; [unrolled: 1-line block ×4, first 2 shown]
	v_mul_lo_u16 v21, v24, 10
	v_mul_lo_u16 v25, v28, 10
	global_wb scope:SCOPE_SE
	s_wait_dscnt 0x0
	s_barrier_signal -1
	s_barrier_wait -1
	v_sub_nc_u16 v21, v34, v21
	v_sub_nc_u16 v20, v20, v25
	global_inv scope:SCOPE_SE
	v_and_b32_e32 v29, 0xff, v21
	v_and_b32_e32 v31, 0xff, v20
	v_mad_u32_u24 v21, 0x48, v34, v40
	v_add_f32_e32 v42, v1, v5
	v_add_f32_e32 v20, v0, v4
	;; [unrolled: 1-line block ×3, first 2 shown]
	v_dual_sub_f32 v33, v4, v8 :: v_dual_sub_f32 v46, v17, v13
	v_dual_sub_f32 v35, v16, v12 :: v_dual_sub_f32 v48, v13, v17
	v_dual_add_f32 v38, v4, v16 :: v_dual_sub_f32 v27, v5, v17
	v_sub_f32_e32 v44, v8, v12
	v_dual_sub_f32 v32, v9, v13 :: v_dual_sub_f32 v39, v8, v4
	v_dual_add_f32 v50, v10, v14 :: v_dual_sub_f32 v45, v5, v9
	v_sub_f32_e32 v56, v10, v6
	v_dual_add_f32 v55, v6, v18 :: v_dual_add_f32 v8, v20, v8
	v_sub_f32_e32 v57, v14, v18
	v_fma_f32 v20, -0.5, v26, v0
	v_add_f32_e32 v26, v33, v35
	v_fma_f32 v33, -0.5, v38, v0
	v_dual_sub_f32 v41, v12, v16 :: v_dual_sub_f32 v52, v11, v15
	v_dual_add_f32 v43, v9, v13 :: v_dual_sub_f32 v54, v18, v14
	v_dual_add_f32 v47, v5, v17 :: v_dual_add_f32 v58, v3, v7
	v_sub_f32_e32 v5, v9, v5
	v_dual_add_f32 v49, v2, v6 :: v_dual_sub_f32 v62, v19, v15
	v_dual_sub_f32 v51, v7, v19 :: v_dual_sub_f32 v60, v10, v14
	v_dual_sub_f32 v53, v6, v10 :: v_dual_sub_f32 v64, v15, v19
	v_dual_add_f32 v59, v11, v15 :: v_dual_add_f32 v38, v45, v46
	v_sub_f32_e32 v61, v7, v11
	v_dual_add_f32 v63, v7, v19 :: v_dual_add_f32 v8, v8, v12
	v_dual_sub_f32 v7, v11, v7 :: v_dual_fmamk_f32 v46, v32, 0xbf737871, v33
	v_sub_f32_e32 v6, v6, v18
	v_add_f32_e32 v0, v39, v41
	v_dual_add_f32 v9, v42, v9 :: v_dual_fmamk_f32 v12, v27, 0x3f737871, v20
	v_fma_f32 v35, -0.5, v43, v1
	v_fma_f32 v39, -0.5, v47, v1
	v_add_f32_e32 v1, v5, v48
	v_dual_add_f32 v5, v49, v10 :: v_dual_fmac_f32 v20, 0xbf737871, v27
	v_fma_f32 v10, -0.5, v50, v2
	v_fma_f32 v2, -0.5, v55, v2
	v_add_f32_e32 v11, v58, v11
	v_fma_f32 v43, -0.5, v59, v3
	v_fmac_f32_e32 v3, -0.5, v63
	v_dual_add_f32 v7, v7, v64 :: v_dual_fmac_f32 v46, 0x3f167918, v27
	v_add_f32_e32 v41, v53, v54
	v_dual_add_f32 v9, v9, v13 :: v_dual_add_f32 v8, v8, v16
	v_dual_add_f32 v5, v5, v14 :: v_dual_fmac_f32 v12, 0x3f167918, v32
	v_fmamk_f32 v14, v51, 0x3f737871, v10
	v_fmamk_f32 v48, v52, 0xbf737871, v2
	v_dual_fmac_f32 v2, 0x3f737871, v52 :: v_dual_add_f32 v11, v11, v15
	v_fmac_f32_e32 v20, 0xbf167918, v32
	v_fmac_f32_e32 v46, 0x3e9e377a, v0
	v_fmamk_f32 v49, v60, 0x3f737871, v3
	v_dual_sub_f32 v4, v4, v16 :: v_dual_lshlrev_b32 v25, 5, v29
	v_fmamk_f32 v47, v44, 0x3f737871, v39
	v_dual_add_f32 v9, v9, v17 :: v_dual_fmac_f32 v14, 0x3f167918, v52
	s_delay_alu instid0(VALU_DEP_4) | instskip(SKIP_3) | instid1(VALU_DEP_4)
	v_fmac_f32_e32 v49, 0xbf167918, v6
	v_fmac_f32_e32 v20, 0x3e9e377a, v26
	v_dual_fmac_f32 v39, 0xbf737871, v44 :: v_dual_add_f32 v42, v56, v57
	v_fmac_f32_e32 v48, 0x3f167918, v51
	v_dual_fmac_f32 v14, 0x3e9e377a, v41 :: v_dual_fmac_f32 v49, 0x3e9e377a, v7
	s_delay_alu instid0(VALU_DEP_3) | instskip(SKIP_1) | instid1(VALU_DEP_4)
	v_fmac_f32_e32 v39, 0x3f167918, v4
	v_fmac_f32_e32 v33, 0x3f737871, v32
	;; [unrolled: 1-line block ×3, first 2 shown]
	v_dual_add_f32 v45, v61, v62 :: v_dual_fmac_f32 v10, 0xbf737871, v51
	s_delay_alu instid0(VALU_DEP_4)
	v_fmac_f32_e32 v39, 0x3e9e377a, v1
	v_mul_f32_e32 v17, 0x3f737871, v49
	v_fmamk_f32 v13, v4, 0xbf737871, v35
	v_fmac_f32_e32 v47, 0xbf167918, v4
	v_fmac_f32_e32 v10, 0xbf167918, v52
	;; [unrolled: 1-line block ×4, first 2 shown]
	v_dual_fmac_f32 v35, 0x3f737871, v4 :: v_dual_add_f32 v4, v5, v18
	v_fmac_f32_e32 v33, 0xbf167918, v27
	v_fmamk_f32 v15, v6, 0xbf737871, v43
	v_fmac_f32_e32 v43, 0x3f737871, v6
	v_dual_add_f32 v5, v11, v19 :: v_dual_fmac_f32 v12, 0x3e9e377a, v26
	s_delay_alu instid0(VALU_DEP_4)
	v_fmac_f32_e32 v33, 0x3e9e377a, v0
	v_fmac_f32_e32 v3, 0xbf737871, v60
	v_mul_f32_e32 v26, 0xbf737871, v48
	v_fmac_f32_e32 v13, 0xbf167918, v44
	v_add_f32_e32 v0, v8, v4
	v_fmac_f32_e32 v15, 0xbf167918, v60
	v_fmac_f32_e32 v3, 0x3f167918, v6
	;; [unrolled: 1-line block ×3, first 2 shown]
	v_sub_f32_e32 v4, v8, v4
	v_fmac_f32_e32 v43, 0x3f167918, v60
	v_fmac_f32_e32 v15, 0x3e9e377a, v45
	v_dual_fmac_f32 v3, 0x3e9e377a, v7 :: v_dual_fmac_f32 v26, 0x3e9e377a, v49
	s_delay_alu instid0(VALU_DEP_3) | instskip(SKIP_3) | instid1(VALU_DEP_4)
	v_dual_mul_f32 v6, 0x3e9e377a, v2 :: v_dual_fmac_f32 v43, 0x3e9e377a, v45
	v_fmac_f32_e32 v13, 0x3e9e377a, v38
	v_mul_f32_e32 v16, 0x3f4f1bbd, v14
	v_fmac_f32_e32 v10, 0x3e9e377a, v41
	v_fma_f32 v18, 0x3f737871, v3, -v6
	v_dual_add_f32 v6, v46, v17 :: v_dual_fmac_f32 v35, 0x3f167918, v44
	s_delay_alu instid0(VALU_DEP_4) | instskip(NEXT) | instid1(VALU_DEP_4)
	v_fmac_f32_e32 v16, 0x3f167918, v15
	v_mul_f32_e32 v7, 0x3f4f1bbd, v10
	v_mul_f32_e32 v8, 0x3e9e377a, v3
	;; [unrolled: 1-line block ×3, first 2 shown]
	v_dual_fmac_f32 v35, 0x3e9e377a, v38 :: v_dual_sub_f32 v14, v46, v17
	s_delay_alu instid0(VALU_DEP_4) | instskip(NEXT) | instid1(VALU_DEP_4)
	v_fma_f32 v27, 0x3f167918, v43, -v7
	v_fma_f32 v32, 0xbf737871, v2, -v8
	v_add_f32_e32 v2, v12, v16
	v_add_f32_e32 v8, v33, v18
	v_sub_f32_e32 v12, v12, v16
	v_sub_f32_e32 v16, v33, v18
	v_dual_sub_f32 v18, v20, v27 :: v_dual_fmac_f32 v47, 0x3e9e377a, v1
	v_add_f32_e32 v1, v9, v5
	v_sub_f32_e32 v5, v9, v5
	v_mul_f32_e32 v9, 0x3f4f1bbd, v43
	v_fmac_f32_e32 v19, 0x3f4f1bbd, v15
	v_add_f32_e32 v7, v47, v26
	v_sub_f32_e32 v15, v47, v26
	v_sub_f32_e32 v17, v39, v32
	v_fma_f32 v38, 0xbf167918, v10, -v9
	v_add_f32_e32 v3, v13, v19
	v_dual_add_f32 v9, v39, v32 :: v_dual_add_f32 v10, v20, v27
	v_sub_f32_e32 v13, v13, v19
	s_delay_alu instid0(VALU_DEP_4)
	v_add_f32_e32 v11, v35, v38
	v_sub_f32_e32 v19, v35, v38
	ds_store_2addr_b64 v21, v[0:1], v[2:3] offset1:1
	ds_store_2addr_b64 v21, v[6:7], v[8:9] offset0:2 offset1:3
	ds_store_2addr_b64 v21, v[10:11], v[4:5] offset0:4 offset1:5
	;; [unrolled: 1-line block ×4, first 2 shown]
	v_lshlrev_b32_e32 v0, 5, v31
	global_wb scope:SCOPE_SE
	s_wait_dscnt 0x0
	s_barrier_signal -1
	s_barrier_wait -1
	global_inv scope:SCOPE_SE
	s_clause 0x3
	global_load_b128 v[6:9], v25, s[4:5]
	global_load_b128 v[10:13], v25, s[4:5] offset:16
	global_load_b128 v[14:17], v0, s[4:5]
	global_load_b128 v[18:21], v0, s[4:5] offset:16
	v_and_b32_e32 v0, 0xffff, v24
	ds_load_2addr_b64 v[24:27], v40 offset0:170 offset1:255
	ds_load_2addr_b64 v[41:44], v22 offset0:84 offset1:169
	;; [unrolled: 1-line block ×4, first 2 shown]
	v_lshlrev_b32_e32 v2, 3, v29
	v_mul_u32_u24_e32 v0, 0x190, v0
	s_wait_loadcnt_dscnt 0x200
	v_dual_mul_f32 v32, v13, v50 :: v_dual_lshlrev_b32 v3, 3, v31
	s_wait_loadcnt 0x0
	v_dual_mul_f32 v33, v13, v49 :: v_dual_mul_f32 v38, v48, v19
	v_mul_f32_e32 v19, v47, v19
	v_mul_f32_e32 v53, v51, v21
	;; [unrolled: 1-line block ×5, first 2 shown]
	v_fmac_f32_e32 v19, v48, v18
	v_fmac_f32_e32 v53, v52, v20
	s_delay_alu instid0(VALU_DEP_1) | instskip(SKIP_2) | instid1(VALU_DEP_1)
	v_dual_fmac_f32 v33, v12, v50 :: v_dual_sub_f32 v62, v19, v53
	v_sub_f32_e32 v59, v53, v19
	v_mul_f32_e32 v15, v15, v26
	v_fmac_f32_e32 v15, v14, v27
	v_and_b32_e32 v1, 0xffff, v28
	v_add3_u32 v28, 0, v0, v2
	v_dual_mul_f32 v0, v7, v25 :: v_dual_fmac_f32 v11, v10, v46
	s_delay_alu instid0(VALU_DEP_4) | instskip(SKIP_4) | instid1(VALU_DEP_3)
	v_add_f32_e32 v60, v15, v53
	v_sub_f32_e32 v46, v15, v53
	v_mul_u32_u24_e32 v1, 0x190, v1
	v_mul_f32_e32 v39, v52, v21
	v_fma_f32 v0, v6, v24, -v0
	v_add3_u32 v29, 0, v1, v3
	ds_load_2addr_b64 v[2:5], v40 offset1:85
	v_mul_f32_e32 v1, v7, v24
	v_fma_f32 v24, v51, v20, -v39
	v_mul_f32_e32 v7, v9, v42
	v_mul_f32_e32 v9, v9, v41
	global_wb scope:SCOPE_SE
	s_wait_dscnt 0x0
	v_fmac_f32_e32 v1, v6, v25
	s_barrier_signal -1
	v_fma_f32 v6, v8, v41, -v7
	v_fmac_f32_e32 v9, v8, v42
	v_fma_f32 v7, v10, v45, -v31
	v_fma_f32 v10, v12, v49, -v32
	;; [unrolled: 1-line block ×3, first 2 shown]
	v_sub_f32_e32 v41, v33, v11
	v_dual_sub_f32 v26, v9, v11 :: v_dual_mul_f32 v35, v44, v17
	s_delay_alu instid0(VALU_DEP_4) | instskip(SKIP_2) | instid1(VALU_DEP_4)
	v_dual_mul_f32 v17, v43, v17 :: v_dual_sub_f32 v20, v10, v7
	v_sub_f32_e32 v27, v6, v0
	v_sub_f32_e32 v31, v7, v10
	v_fma_f32 v12, v43, v16, -v35
	s_delay_alu instid0(VALU_DEP_4)
	v_fmac_f32_e32 v17, v44, v16
	v_fma_f32 v16, v47, v18, -v38
	v_dual_sub_f32 v18, v0, v6 :: v_dual_add_f32 v13, v2, v0
	v_add_f32_e32 v21, v0, v10
	v_sub_f32_e32 v38, v0, v10
	v_add_f32_e32 v44, v4, v8
	v_add_f32_e32 v50, v8, v24
	v_sub_f32_e32 v52, v16, v24
	v_sub_f32_e32 v58, v15, v17
	v_dual_sub_f32 v0, v1, v9 :: v_dual_add_f32 v63, v18, v20
	v_add_f32_e32 v45, v12, v16
	v_add_f32_e32 v27, v27, v31
	v_sub_f32_e32 v51, v12, v8
	v_sub_f32_e32 v48, v8, v12
	;; [unrolled: 1-line block ×3, first 2 shown]
	v_add_f32_e32 v31, v0, v41
	v_add_f32_e32 v0, v44, v12
	v_fma_f32 v12, -0.5, v45, v4
	v_fma_f32 v4, -0.5, v50, v4
	v_add_f32_e32 v41, v51, v52
	v_dual_sub_f32 v47, v17, v19 :: v_dual_add_f32 v32, v3, v1
	v_add_f32_e32 v14, v6, v7
	v_sub_f32_e32 v56, v8, v24
	v_fma_f32 v8, -0.5, v21, v2
	s_delay_alu instid0(VALU_DEP_4) | instskip(SKIP_3) | instid1(VALU_DEP_4)
	v_dual_fmamk_f32 v20, v47, 0xbf737871, v4 :: v_dual_add_f32 v35, v9, v11
	v_add_f32_e32 v18, v32, v9
	v_add_f32_e32 v54, v5, v15
	v_fma_f32 v14, -0.5, v14, v2
	v_fmac_f32_e32 v20, 0x3f167918, v46
	s_barrier_wait -1
	global_inv scope:SCOPE_SE
	v_fmac_f32_e32 v20, 0x3e9e377a, v41
	v_sub_f32_e32 v43, v11, v33
	v_add_f32_e32 v11, v18, v11
	v_fmamk_f32 v18, v46, 0x3f737871, v12
	v_dual_fmac_f32 v12, 0xbf737871, v46 :: v_dual_sub_f32 v25, v1, v33
	v_add_f32_e32 v42, v1, v33
	s_delay_alu instid0(VALU_DEP_3) | instskip(SKIP_4) | instid1(VALU_DEP_4)
	v_dual_sub_f32 v1, v9, v1 :: v_dual_fmac_f32 v18, 0x3f167918, v47
	v_fmac_f32_e32 v4, 0x3f737871, v47
	v_dual_sub_f32 v39, v6, v7 :: v_dual_add_f32 v6, v13, v6
	v_sub_f32_e32 v61, v17, v15
	v_fmamk_f32 v2, v25, 0x3f737871, v14
	v_dual_fmac_f32 v4, 0xbf167918, v46 :: v_dual_add_f32 v55, v17, v19
	v_fmac_f32_e32 v12, 0xbf167918, v47
	v_dual_add_f32 v32, v1, v43 :: v_dual_add_f32 v1, v54, v17
	s_delay_alu instid0(VALU_DEP_3)
	v_dual_fmac_f32 v4, 0x3e9e377a, v41 :: v_dual_add_f32 v17, v6, v7
	v_fmamk_f32 v6, v26, 0xbf737871, v8
	v_fmac_f32_e32 v8, 0x3f737871, v26
	v_fma_f32 v15, -0.5, v35, v3
	v_fma_f32 v9, -0.5, v42, v3
	;; [unrolled: 1-line block ×3, first 2 shown]
	v_dual_fmac_f32 v5, -0.5, v60 :: v_dual_fmac_f32 v2, 0x3f167918, v26
	v_fmac_f32_e32 v14, 0xbf737871, v25
	v_fmac_f32_e32 v8, 0xbf167918, v25
	v_fmamk_f32 v3, v38, 0xbf737871, v15
	v_fmac_f32_e32 v15, 0x3f737871, v38
	v_fmamk_f32 v7, v39, 0x3f737871, v9
	v_fmac_f32_e32 v9, 0xbf737871, v39
	v_dual_fmac_f32 v14, 0xbf167918, v26 :: v_dual_sub_f32 v49, v24, v16
	v_fmac_f32_e32 v6, 0x3f167918, v25
	v_dual_add_f32 v44, v1, v19 :: v_dual_fmamk_f32 v19, v56, 0xbf737871, v13
	s_delay_alu instid0(VALU_DEP_3)
	v_fmac_f32_e32 v14, 0x3e9e377a, v63
	v_fmac_f32_e32 v13, 0x3f737871, v56
	;; [unrolled: 1-line block ×3, first 2 shown]
	v_fmamk_f32 v21, v57, 0x3f737871, v5
	v_fmac_f32_e32 v5, 0xbf737871, v57
	v_dual_add_f32 v35, v48, v49 :: v_dual_add_f32 v42, v58, v59
	v_dual_add_f32 v43, v61, v62 :: v_dual_add_f32 v16, v0, v16
	v_fmac_f32_e32 v3, 0xbf167918, v39
	v_fmac_f32_e32 v15, 0x3f167918, v39
	;; [unrolled: 1-line block ×7, first 2 shown]
	v_dual_fmac_f32 v5, 0x3f167918, v56 :: v_dual_add_f32 v0, v17, v10
	v_dual_add_f32 v1, v11, v33 :: v_dual_add_f32 v16, v16, v24
	v_dual_add_f32 v17, v44, v53 :: v_dual_fmac_f32 v6, 0x3e9e377a, v27
	v_fmac_f32_e32 v7, 0x3e9e377a, v32
	v_dual_fmac_f32 v9, 0x3e9e377a, v32 :: v_dual_fmac_f32 v18, 0x3e9e377a, v35
	v_fmac_f32_e32 v2, 0x3e9e377a, v63
	v_fmac_f32_e32 v12, 0x3e9e377a, v35
	;; [unrolled: 1-line block ×8, first 2 shown]
	ds_store_2addr_b64 v28, v[0:1], v[2:3] offset1:10
	ds_store_2addr_b64 v28, v[6:7], v[8:9] offset0:20 offset1:30
	ds_store_b64 v28, v[14:15] offset:320
	ds_store_2addr_b64 v29, v[16:17], v[18:19] offset1:10
	ds_store_2addr_b64 v29, v[20:21], v[4:5] offset0:20 offset1:30
	ds_store_b64 v29, v[12:13] offset:320
	global_wb scope:SCOPE_SE
	s_wait_dscnt 0x0
	s_barrier_signal -1
	s_barrier_wait -1
	global_inv scope:SCOPE_SE
                                        ; implicit-def: $vgpr39
                                        ; implicit-def: $vgpr33
                                        ; implicit-def: $vgpr29
                                        ; implicit-def: $vgpr25
	s_and_saveexec_b32 s1, s0
	s_cbranch_execz .LBB0_19
; %bb.18:
	ds_load_2addr_b64 v[0:3], v40 offset1:50
	ds_load_2addr_b64 v[6:9], v40 offset0:100 offset1:150
	ds_load_2addr_b64 v[10:13], v22 offset0:144 offset1:194
	;; [unrolled: 1-line block ×7, first 2 shown]
	ds_load_b64 v[38:39], v40 offset:6400
	s_wait_dscnt 0x6
	v_dual_mov_b32 v5, v11 :: v_dual_mov_b32 v4, v10
.LBB0_19:
	s_wait_alu 0xfffe
	s_or_b32 exec_lo, exec_lo, s1
	global_wb scope:SCOPE_SE
	s_wait_dscnt 0x0
	s_barrier_signal -1
	s_barrier_wait -1
	global_inv scope:SCOPE_SE
	s_and_saveexec_b32 s1, s0
	s_cbranch_execz .LBB0_21
; %bb.20:
	v_dual_mov_b32 v11, 0 :: v_dual_lshlrev_b32 v10, 4, v34
	s_delay_alu instid0(VALU_DEP_1) | instskip(NEXT) | instid1(VALU_DEP_1)
	v_add_nc_u32_e32 v35, 0xfffffce0, v10
	v_cndmask_b32_e64 v10, v35, v10, s0
	s_delay_alu instid0(VALU_DEP_1) | instskip(NEXT) | instid1(VALU_DEP_1)
	v_lshlrev_b64_e32 v[10:11], 3, v[10:11]
	v_add_co_u32 v10, s0, s4, v10
	s_wait_alu 0xf1ff
	s_delay_alu instid0(VALU_DEP_2)
	v_add_co_ci_u32_e64 v11, s0, s5, v11, s0
	s_clause 0x7
	global_load_b128 v[49:52], v[10:11], off offset:320
	global_load_b128 v[58:61], v[10:11], off offset:432
	global_load_b128 v[64:67], v[10:11], off offset:336
	global_load_b128 v[68:71], v[10:11], off offset:416
	global_load_b128 v[72:75], v[10:11], off offset:352
	global_load_b128 v[76:79], v[10:11], off offset:400
	global_load_b128 v[80:83], v[10:11], off offset:368
	global_load_b128 v[85:88], v[10:11], off offset:384
	s_wait_loadcnt 0x6
	v_dual_mul_f32 v10, v3, v50 :: v_dual_mul_f32 v35, v38, v61
	s_wait_loadcnt 0x4
	v_dual_mul_f32 v11, v39, v61 :: v_dual_mul_f32 v42, v30, v71
	v_dual_mul_f32 v47, v2, v50 :: v_dual_mul_f32 v48, v8, v65
	s_wait_loadcnt 0x2
	v_dual_mul_f32 v57, v9, v65 :: v_dual_mul_f32 v44, v26, v79
	v_dual_mul_f32 v61, v31, v71 :: v_dual_mul_f32 v46, v24, v77
	;; [unrolled: 1-line block ×4, first 2 shown]
	v_mul_f32_e32 v54, v33, v59
	v_mul_f32_e32 v41, v32, v59
	v_dual_mul_f32 v45, v6, v52 :: v_dual_mul_f32 v52, v16, v73
	s_wait_loadcnt 0x0
	v_dual_mul_f32 v63, v15, v67 :: v_dual_mul_f32 v62, v12, v86
	v_dual_mul_f32 v43, v28, v69 :: v_dual_fmac_f32 v42, v31, v70
	v_dual_mul_f32 v67, v17, v73 :: v_dual_fmac_f32 v50, v15, v66
	;; [unrolled: 1-line block ×8, first 2 shown]
	v_fma_f32 v38, v38, v60, -v11
	v_fma_f32 v113, v2, v49, -v10
	v_dual_mul_f32 v55, v22, v88 :: v_dual_mul_f32 v88, v13, v86
	v_fmac_f32_e32 v47, v3, v49
	v_fma_f32 v49, v30, v70, -v61
	v_fma_f32 v104, v8, v64, -v57
	v_mul_f32_e32 v81, v5, v83
	v_fma_f32 v106, v6, v51, -v53
	v_fma_f32 v98, v14, v66, -v63
	s_delay_alu instid0(VALU_DEP_4)
	v_dual_fmac_f32 v43, v29, v68 :: v_dual_add_f32 v30, v104, v49
	v_fmac_f32_e32 v35, v39, v60
	v_fma_f32 v97, v16, v72, -v67
	v_fma_f32 v53, v26, v78, -v69
	v_fmac_f32_e32 v45, v7, v51
	v_fma_f32 v51, v28, v68, -v71
	v_fma_f32 v92, v20, v80, -v75
	;; [unrolled: 1-line block ×3, first 2 shown]
	v_sub_f32_e32 v172, v97, v53
	v_fma_f32 v17, v12, v85, -v88
	v_sub_f32_e32 v174, v104, v49
	v_fma_f32 v84, v4, v82, -v81
	v_fma_f32 v39, v32, v58, -v54
	v_fmac_f32_e32 v41, v33, v58
	v_fma_f32 v93, v18, v74, -v73
	v_fma_f32 v60, v24, v76, -v79
	v_sub_f32_e32 v130, v84, v17
	s_delay_alu instid0(VALU_DEP_4) | instskip(SKIP_3) | instid1(VALU_DEP_3)
	v_dual_mul_f32 v65, v4, v83 :: v_dual_add_f32 v24, v45, v41
	v_dual_sub_f32 v173, v98, v51 :: v_dual_add_f32 v26, v92, v16
	v_add_f32_e32 v22, v50, v43
	v_dual_add_f32 v20, v56, v46 :: v_dual_sub_f32 v15, v47, v35
	v_dual_mul_f32 v112, 0x3f2c7751, v173 :: v_dual_fmac_f32 v65, v5, v82
	v_dual_sub_f32 v168, v52, v44 :: v_dual_add_f32 v33, v47, v35
	v_dual_add_f32 v32, v113, v38 :: v_dual_sub_f32 v175, v106, v39
	v_sub_f32_e32 v14, v45, v41
	v_dual_add_f32 v27, v93, v60 :: v_dual_mul_f32 v122, 0xbe3c28d5, v15
	v_dual_fmac_f32 v59, v21, v80 :: v_dual_sub_f32 v170, v48, v42
	v_dual_sub_f32 v176, v113, v38 :: v_dual_fmac_f32 v55, v23, v87
	v_dual_add_f32 v18, v65, v62 :: v_dual_add_f32 v31, v106, v39
	v_mul_f32_e32 v118, 0x3eb8f4ab, v14
	s_delay_alu instid0(VALU_DEP_3) | instskip(SKIP_4) | instid1(VALU_DEP_3)
	v_dual_mul_f32 v75, 0xbf763a35, v130 :: v_dual_mul_f32 v148, 0xbf763a35, v176
	v_dual_mul_f32 v138, 0x3f763a35, v175 :: v_dual_mul_f32 v119, 0x3f763a35, v14
	v_fma_f32 v3, 0xbf7ba420, v32, -v122
	v_dual_sub_f32 v169, v50, v43 :: v_dual_mul_f32 v124, 0xbf06c442, v176
	v_dual_mul_f32 v111, 0xbf06c442, v170 :: v_dual_mul_f32 v132, 0xbf06c442, v15
	v_dual_mul_f32 v136, 0xbf7ee86f, v174 :: v_dual_add_f32 v3, v0, v3
	v_fma_f32 v5, 0x3f6eb680, v31, -v118
	v_dual_fmamk_f32 v200, v18, 0xbe8c1d8e, v75 :: v_dual_fmamk_f32 v203, v24, 0xbe8c1d8e, v138
	v_mul_f32_e32 v143, 0xbf4c4adb, v176
	v_dual_add_f32 v21, v52, v44 :: v_dual_sub_f32 v166, v59, v55
	v_dual_sub_f32 v147, v92, v16 :: v_dual_mul_f32 v120, 0xbf06c442, v174
	v_add_f32_e32 v29, v98, v51
	v_dual_sub_f32 v165, v65, v62 :: v_dual_mul_f32 v94, 0x3f65296c, v175
	v_mul_f32_e32 v99, 0xbf4c4adb, v172
	s_delay_alu instid0(VALU_DEP_4)
	v_dual_mul_f32 v105, 0x3f2c7751, v169 :: v_dual_mul_f32 v102, 0x3f2c7751, v147
	v_dual_mul_f32 v108, 0xbf65296c, v168 :: v_dual_add_f32 v3, v5, v3
	v_fma_f32 v7, 0xbf59a7d5, v30, -v111
	v_dual_fmamk_f32 v202, v33, 0xbf1a4643, v143 :: v_dual_add_f32 v19, v59, v55
	v_mul_f32_e32 v160, 0xbe3c28d5, v176
	v_dual_mul_f32 v64, 0xbf763a35, v166 :: v_dual_mul_f32 v67, 0xbf763a35, v165
	s_delay_alu instid0(VALU_DEP_3)
	v_add_f32_e32 v202, v1, v202
	v_dual_mul_f32 v140, 0x3f06c442, v175 :: v_dual_mul_f32 v133, 0x3f06c442, v14
	v_dual_mul_f32 v126, 0xbf65296c, v169 :: v_dual_mul_f32 v159, 0xbf65296c, v176
	v_mul_f32_e32 v70, 0xbf4c4adb, v165
	v_dual_mul_f32 v146, 0x3f763a35, v174 :: v_dual_mul_f32 v161, 0x3f763a35, v173
	v_fma_f32 v9, 0x3f3d2fb0, v29, -v105
	v_dual_fmamk_f32 v10, v21, 0xbf1a4643, v99 :: v_dual_add_f32 v3, v7, v3
	v_fmamk_f32 v207, v33, 0xbe8c1d8e, v148
	v_dual_sub_f32 v163, v93, v60 :: v_dual_mul_f32 v158, 0x3eb8f4ab, v175
	v_mul_f32_e32 v96, 0x3e3c28d5, v170
	v_fmamk_f32 v184, v24, 0x3ee437d1, v94
	v_dual_fmamk_f32 v208, v24, 0xbf59a7d5, v140 :: v_dual_add_f32 v3, v9, v3
	v_dual_add_f32 v202, v203, v202 :: v_dual_fmamk_f32 v203, v33, 0x3ee437d1, v159
	v_add_f32_e32 v207, v1, v207
	v_dual_fmamk_f32 v2, v33, 0xbf7ba420, v160 :: v_dual_add_f32 v23, v48, v42
	v_dual_add_f32 v28, v97, v53 :: v_dual_mul_f32 v121, 0xbf7ee86f, v170
	v_mul_f32_e32 v144, 0xbf7ee86f, v176
	v_dual_fmamk_f32 v4, v24, 0x3f6eb680, v158 :: v_dual_add_f32 v203, v1, v203
	v_add_f32_e32 v207, v208, v207
	v_dual_mul_f32 v83, 0x3f65296c, v163 :: v_dual_add_f32 v2, v1, v2
	v_mul_f32_e32 v79, 0xbf4c4adb, v168
	v_dual_mul_f32 v103, 0xbe3c28d5, v168 :: v_dual_mul_f32 v110, 0xbe3c28d5, v175
	v_fma_f32 v205, 0xbe8c1d8e, v31, -v119
	s_delay_alu instid0(VALU_DEP_4) | instskip(NEXT) | instid1(VALU_DEP_4)
	v_dual_mul_f32 v125, 0xbf4c4adb, v15 :: v_dual_add_f32 v2, v4, v2
	v_fma_f32 v11, 0xbf1a4643, v28, -v79
	v_fmamk_f32 v4, v33, 0x3dbcf732, v144
	v_fma_f32 v185, 0xbf59a7d5, v32, -v132
	s_delay_alu instid0(VALU_DEP_4)
	v_fma_f32 v204, 0xbf1a4643, v32, -v125
	v_mul_f32_e32 v123, 0x3f65296c, v14
	v_fmamk_f32 v5, v24, 0xbf7ba420, v110
	v_add_f32_e32 v3, v11, v3
	v_dual_mul_f32 v151, 0xbf2c7751, v163 :: v_dual_add_f32 v4, v1, v4
	v_dual_mul_f32 v134, 0x3f4c4adb, v173 :: v_dual_mul_f32 v117, 0x3f4c4adb, v147
	v_dual_mul_f32 v131, 0xbeb8f4ab, v172 :: v_dual_mul_f32 v162, 0xbeb8f4ab, v174
	s_delay_alu instid0(VALU_DEP_3)
	v_dual_mul_f32 v115, 0xbe3c28d5, v147 :: v_dual_add_f32 v4, v5, v4
	v_dual_mul_f32 v74, 0xbeb8f4ab, v166 :: v_dual_add_f32 v185, v0, v185
	;; [unrolled: 1-line block ×3, first 2 shown]
	v_fma_f32 v186, 0x3ee437d1, v31, -v123
	v_mul_f32_e32 v100, 0xbf65296c, v15
	v_fmamk_f32 v192, v22, 0xbf1a4643, v134
	v_fmamk_f32 v206, v23, 0x3f6eb680, v162
	s_delay_alu instid0(VALU_DEP_4)
	v_dual_add_f32 v204, v205, v204 :: v_dual_add_f32 v185, v186, v185
	v_fmamk_f32 v205, v24, 0xbf1a4643, v155
	v_fmamk_f32 v6, v23, 0xbf59a7d5, v120
	v_fma_f32 v208, 0x3ee437d1, v32, -v100
	v_mul_f32_e32 v71, 0x3f65296c, v130
	v_dual_mul_f32 v107, 0x3eb8f4ab, v169 :: v_dual_add_f32 v202, v206, v202
	v_mul_f32_e32 v181, 0xbf2c7751, v176
	v_fmamk_f32 v8, v22, 0x3f3d2fb0, v112
	v_dual_add_f32 v208, v0, v208 :: v_dual_mul_f32 v139, 0xbf763a35, v15
	v_add_f32_e32 v203, v205, v203
	v_dual_mul_f32 v145, 0x3eb8f4ab, v173 :: v_dual_add_f32 v2, v6, v2
	v_fmamk_f32 v5, v33, 0x3f3d2fb0, v181
	v_mul_f32_e32 v89, 0x3f2c7751, v168
	v_fma_f32 v209, 0xbe8c1d8e, v32, -v139
	v_dual_sub_f32 v167, v56, v46 :: v_dual_mul_f32 v78, 0xbf763a35, v147
	v_add_f32_e32 v2, v8, v2
	v_fma_f32 v8, 0x3ee437d1, v29, -v126
	v_fmamk_f32 v183, v33, 0xbf59a7d5, v124
	v_mul_f32_e32 v80, 0xbeb8f4ab, v170
	v_dual_mul_f32 v142, 0xbf7ee86f, v15 :: v_dual_mul_f32 v91, 0xbf7ee86f, v166
	v_dual_mul_f32 v128, 0xbeb8f4ab, v163 :: v_dual_add_f32 v209, v0, v209
	v_fma_f32 v210, 0xbf59a7d5, v31, -v133
	v_add_f32_e32 v183, v1, v183
	v_fma_f32 v205, 0x3f6eb680, v30, -v80
	v_mul_f32_e32 v129, 0x3f2c7751, v170
	v_dual_mul_f32 v85, 0x3f4c4adb, v169 :: v_dual_mul_f32 v82, 0x3f4c4adb, v166
	v_dual_mul_f32 v101, 0xbe3c28d5, v163 :: v_dual_mul_f32 v68, 0xbe3c28d5, v166
	v_dual_mul_f32 v164, 0x3e3c28d5, v174 :: v_dual_add_f32 v183, v184, v183
	v_dual_mul_f32 v90, 0xbeb8f4ab, v167 :: v_dual_add_f32 v209, v210, v209
	v_fma_f32 v190, 0x3dbcf732, v30, -v121
	v_fma_f32 v184, 0x3dbcf732, v32, -v142
	v_add_f32_e32 v204, v205, v204
	v_fma_f32 v206, 0x3f3d2fb0, v30, -v129
	v_mul_f32_e32 v137, 0xbe3c28d5, v14
	s_delay_alu instid0(VALU_DEP_4)
	v_dual_mul_f32 v69, 0xbf2c7751, v167 :: v_dual_add_f32 v184, v0, v184
	v_dual_mul_f32 v180, 0xbf7ee86f, v175 :: v_dual_add_f32 v185, v190, v185
	v_fma_f32 v193, 0xbf1a4643, v29, -v85
	v_fmamk_f32 v196, v20, 0xbf7ba420, v101
	v_dual_add_f32 v206, v206, v209 :: v_dual_fmamk_f32 v209, v23, 0xbf7ba420, v164
	v_fma_f32 v186, 0xbf7ba420, v31, -v137
	v_mul_f32_e32 v63, 0x3f65296c, v165
	v_dual_mul_f32 v114, 0xbf7ee86f, v147 :: v_dual_add_f32 v5, v1, v5
	s_delay_alu instid0(VALU_DEP_4) | instskip(NEXT) | instid1(VALU_DEP_4)
	v_dual_fmamk_f32 v182, v19, 0xbe8c1d8e, v78 :: v_dual_add_f32 v203, v209, v203
	v_add_f32_e32 v184, v186, v184
	v_dual_fmamk_f32 v186, v24, 0x3dbcf732, v180 :: v_dual_add_f32 v185, v193, v185
	v_mul_f32_e32 v157, 0x3f2c7751, v174
	v_add_f32_e32 v8, v8, v206
	v_fmamk_f32 v206, v22, 0xbe8c1d8e, v161
	s_delay_alu instid0(VALU_DEP_4) | instskip(SKIP_2) | instid1(VALU_DEP_4)
	v_dual_add_f32 v186, v186, v5 :: v_dual_mul_f32 v135, 0x3f763a35, v170
	v_mul_f32_e32 v88, 0x3f763a35, v169
	v_dual_mul_f32 v57, 0x3f7ee86f, v130 :: v_dual_mul_f32 v72, 0x3f7ee86f, v168
	v_dual_add_f32 v203, v206, v203 :: v_dual_fmamk_f32 v190, v23, 0x3f3d2fb0, v157
	v_mul_f32_e32 v77, 0xbf4c4adb, v130
	v_dual_mul_f32 v86, 0xbeb8f4ab, v168 :: v_dual_mul_f32 v149, 0xbeb8f4ab, v147
	v_dual_mul_f32 v81, 0xbf06c442, v169 :: v_dual_mul_f32 v116, 0xbf06c442, v163
	s_delay_alu instid0(VALU_DEP_4) | instskip(SKIP_4) | instid1(VALU_DEP_4)
	v_add_f32_e32 v190, v190, v207
	v_fma_f32 v207, 0xbe8c1d8e, v30, -v135
	v_mul_f32_e32 v95, 0xbf4c4adb, v14
	v_dual_mul_f32 v154, 0xbf65296c, v173 :: v_dual_mul_f32 v141, 0xbf65296c, v172
	v_dual_mul_f32 v156, 0xbf06c442, v173 :: v_dual_mul_f32 v109, 0xbf06c442, v167
	v_add_f32_e32 v184, v207, v184
	s_delay_alu instid0(VALU_DEP_4) | instskip(SKIP_3) | instid1(VALU_DEP_4)
	v_fma_f32 v210, 0xbf1a4643, v31, -v95
	v_fmamk_f32 v205, v23, 0xbe8c1d8e, v146
	v_dual_fmamk_f32 v188, v18, 0x3dbcf732, v57 :: v_dual_fmamk_f32 v189, v23, 0x3dbcf732, v136
	v_fma_f32 v195, 0x3f6eb680, v28, -v86
	v_add_f32_e32 v208, v210, v208
	s_delay_alu instid0(VALU_DEP_4) | instskip(SKIP_4) | instid1(VALU_DEP_4)
	v_add_f32_e32 v4, v205, v4
	v_fma_f32 v205, 0xbf7ba420, v30, -v96
	v_fma_f32 v5, 0xbf59a7d5, v29, -v81
	v_dual_mul_f32 v153, 0x3f7ee86f, v172 :: v_dual_mul_f32 v76, 0x3f7ee86f, v167
	v_dual_fmamk_f32 v12, v20, 0x3ee437d1, v83 :: v_dual_add_f32 v183, v189, v183
	v_dual_add_f32 v205, v205, v208 :: v_dual_fmamk_f32 v208, v22, 0x3ee437d1, v154
	v_add_f32_e32 v185, v195, v185
	v_mul_f32_e32 v177, 0xbf2c7751, v15
	v_dual_fmamk_f32 v210, v22, 0xbf59a7d5, v156 :: v_dual_add_f32 v5, v5, v204
	v_fma_f32 v7, 0x3dbcf732, v28, -v72
	v_add_f32_e32 v190, v208, v190
	v_fma_f32 v208, 0x3f6eb680, v29, -v107
	v_dual_mul_f32 v87, 0xbe3c28d5, v167 :: v_dual_mul_f32 v152, 0xbe3c28d5, v172
	v_dual_fmamk_f32 v194, v21, 0x3f6eb680, v131 :: v_dual_add_f32 v183, v192, v183
	v_fmamk_f32 v6, v21, 0x3dbcf732, v153
	v_dual_fmamk_f32 v192, v18, 0x3ee437d1, v71 :: v_dual_add_f32 v5, v7, v5
	v_add_f32_e32 v202, v210, v202
	v_add_f32_e32 v184, v208, v184
	v_fma_f32 v7, 0x3ee437d1, v28, -v108
	v_dual_fmamk_f32 v204, v22, 0x3f6eb680, v145 :: v_dual_add_f32 v25, v84, v17
	v_mul_f32_e32 v66, 0x3f65296c, v167
	v_dual_mul_f32 v61, 0x3f7ee86f, v165 :: v_dual_mul_f32 v150, 0x3f7ee86f, v163
	v_dual_mul_f32 v58, 0x3f2c7751, v130 :: v_dual_mul_f32 v127, 0x3f2c7751, v172
	v_fma_f32 v197, 0xbf7ba420, v27, -v87
	v_fma_f32 v207, 0x3f3d2fb0, v27, -v69
	;; [unrolled: 1-line block ×3, first 2 shown]
	v_add_f32_e32 v183, v194, v183
	v_dual_fmamk_f32 v193, v21, 0xbf7ba420, v152 :: v_dual_add_f32 v6, v6, v202
	s_delay_alu instid0(VALU_DEP_4)
	v_dual_fmamk_f32 v202, v21, 0x3ee437d1, v141 :: v_dual_add_f32 v5, v207, v5
	v_add_f32_e32 v7, v7, v184
	v_dual_mul_f32 v179, 0xbf4c4adb, v174 :: v_dual_add_f32 v4, v204, v4
	v_fma_f32 v204, 0xbe8c1d8e, v29, -v88
	v_dual_mul_f32 v73, 0x3f2c7751, v166 :: v_dual_mul_f32 v54, 0x3f2c7751, v165
	v_fma_f32 v13, 0x3ee437d1, v27, -v66
	v_dual_fmamk_f32 v198, v19, 0x3f3d2fb0, v102 :: v_dual_fmamk_f32 v189, v20, 0x3f3d2fb0, v151
	s_delay_alu instid0(VALU_DEP_4) | instskip(NEXT) | instid1(VALU_DEP_3)
	v_dual_fmamk_f32 v209, v19, 0xbf7ba420, v115 :: v_dual_add_f32 v204, v204, v205
	v_dual_fmamk_f32 v206, v20, 0x3dbcf732, v150 :: v_dual_add_f32 v3, v13, v3
	v_add_f32_e32 v2, v10, v2
	v_dual_fmamk_f32 v10, v19, 0x3f6eb680, v149 :: v_dual_add_f32 v183, v196, v183
	v_dual_fmamk_f32 v194, v18, 0xbf1a4643, v77 :: v_dual_add_f32 v185, v197, v185
	v_dual_add_f32 v190, v193, v190 :: v_dual_fmamk_f32 v193, v20, 0xbf59a7d5, v116
	v_add_f32_e32 v8, v210, v8
	v_fma_f32 v184, 0xbf59a7d5, v27, -v109
	v_fmamk_f32 v210, v21, 0x3f3d2fb0, v127
	v_fma_f32 v197, 0x3f6eb680, v27, -v90
	v_add_f32_e32 v4, v202, v4
	v_fma_f32 v202, 0x3f3d2fb0, v28, -v89
	v_fma_f32 v199, 0x3f3d2fb0, v26, -v73
	;; [unrolled: 1-line block ×3, first 2 shown]
	v_add_f32_e32 v7, v184, v7
	v_dual_add_f32 v203, v210, v203 :: v_dual_fmamk_f32 v210, v19, 0xbf1a4643, v117
	v_add_f32_e32 v183, v198, v183
	v_dual_add_f32 v202, v202, v204 :: v_dual_add_f32 v185, v199, v185
	v_add_f32_e32 v190, v206, v190
	v_dual_add_f32 v2, v12, v2 :: v_dual_add_f32 v9, v9, v5
	v_fma_f32 v207, 0x3dbcf732, v26, -v91
	s_delay_alu instid0(VALU_DEP_3)
	v_dual_add_f32 v5, v200, v183 :: v_dual_add_f32 v10, v10, v190
	v_add_f32_e32 v4, v193, v4
	v_add_f32_e32 v193, v197, v202
	;; [unrolled: 1-line block ×3, first 2 shown]
	v_fma_f32 v187, 0xbe8c1d8e, v26, -v64
	v_fma_f32 v208, 0x3ee437d1, v25, -v63
	v_fma_f32 v205, 0x3dbcf732, v27, -v76
	v_add_f32_e32 v193, v207, v193
	v_fma_f32 v204, 0xbf1a4643, v26, -v82
	v_fma_f32 v183, 0x3f3d2fb0, v32, -v177
	v_add_f32_e32 v6, v209, v6
	v_fma_f32 v11, 0x3f6eb680, v26, -v74
	v_fmamk_f32 v12, v18, 0x3f3d2fb0, v58
	v_dual_fmamk_f32 v189, v19, 0x3dbcf732, v114 :: v_dual_add_f32 v8, v205, v8
	v_add_f32_e32 v2, v182, v2
	v_add_f32_e32 v182, v187, v3
	;; [unrolled: 1-line block ×4, first 2 shown]
	v_dual_add_f32 v6, v208, v9 :: v_dual_add_f32 v9, v194, v10
	v_fmamk_f32 v196, v20, 0x3f6eb680, v128
	v_dual_mul_f32 v178, 0xbf06c442, v130 :: v_dual_mul_f32 v171, 0xbf06c442, v165
	v_add_f32_e32 v8, v11, v8
	s_delay_alu instid0(VALU_DEP_3) | instskip(SKIP_3) | instid1(VALU_DEP_4)
	v_dual_add_f32 v11, v210, v4 :: v_dual_add_f32 v184, v196, v203
	v_fma_f32 v13, 0x3f3d2fb0, v25, -v54
	v_fma_f32 v191, 0x3dbcf732, v25, -v61
	;; [unrolled: 1-line block ×3, first 2 shown]
	v_dual_add_f32 v11, v12, v11 :: v_dual_fmamk_f32 v206, v18, 0xbf59a7d5, v178
	v_dual_add_f32 v3, v188, v2 :: v_dual_add_f32 v184, v189, v184
	v_fmamk_f32 v12, v23, 0xbf1a4643, v179
	v_mul_f32_e32 v189, 0xbe3c28d5, v173
	v_mul_f32_e32 v190, 0x3f06c442, v172
	;; [unrolled: 1-line block ×3, first 2 shown]
	v_dual_add_f32 v10, v13, v187 :: v_dual_add_f32 v13, v206, v184
	v_add_f32_e32 v12, v12, v186
	v_fmamk_f32 v184, v22, 0xbf7ba420, v189
	v_fmamk_f32 v187, v21, 0xbf59a7d5, v190
	v_fma_f32 v195, 0xbf1a4643, v25, -v70
	v_mul_f32_e32 v172, 0xbf763a35, v172
	v_fma_f32 v205, 0xbf59a7d5, v25, -v171
	v_add_f32_e32 v12, v184, v12
	v_dual_add_f32 v4, v201, v185 :: v_dual_add_f32 v185, v0, v183
	v_add_f32_e32 v2, v191, v182
	v_mul_f32_e32 v182, 0xbf7ee86f, v14
	v_mul_f32_e32 v191, 0x3f763a35, v163
	;; [unrolled: 1-line block ×3, first 2 shown]
	v_add_f32_e32 v187, v187, v12
	v_fmamk_f32 v201, v21, 0xbe8c1d8e, v172
	v_fma_f32 v186, 0x3dbcf732, v31, -v182
	v_fmamk_f32 v188, v20, 0xbe8c1d8e, v191
	v_dual_add_f32 v8, v195, v8 :: v_dual_add_f32 v113, v0, v113
	v_mul_f32_e32 v184, 0xbe3c28d5, v169
	s_delay_alu instid0(VALU_DEP_4)
	v_add_f32_e32 v185, v186, v185
	v_fma_f32 v186, 0xbf1a4643, v30, -v183
	v_add_f32_e32 v187, v188, v187
	v_dual_add_f32 v113, v113, v106 :: v_dual_mul_f32 v188, 0xbeb8f4ab, v176
	v_mul_f32_e32 v176, 0x3f763a35, v167
	v_add_f32_e32 v12, v205, v193
	v_fma_f32 v193, 0xbf7ba420, v29, -v184
	v_mul_f32_e32 v174, 0xbf65296c, v174
	v_dual_add_f32 v186, v186, v185 :: v_dual_mul_f32 v185, 0x3f06c442, v168
	v_dual_fmamk_f32 v195, v19, 0x3ee437d1, v192 :: v_dual_add_f32 v104, v113, v104
	v_fmac_f32_e32 v111, 0xbf59a7d5, v30
	s_delay_alu instid0(VALU_DEP_3) | instskip(NEXT) | instid1(VALU_DEP_4)
	v_add_f32_e32 v193, v193, v186
	v_fma_f32 v194, 0xbf59a7d5, v28, -v185
	v_mul_f32_e32 v186, 0xbf2c7751, v175
	v_dual_mul_f32 v175, 0x3f65296c, v166 :: v_dual_add_f32 v198, v195, v187
	v_mul_f32_e32 v195, 0x3eb8f4ab, v130
	s_delay_alu instid0(VALU_DEP_4) | instskip(SKIP_4) | instid1(VALU_DEP_4)
	v_add_f32_e32 v193, v194, v193
	v_fma_f32 v194, 0xbe8c1d8e, v27, -v176
	v_fmamk_f32 v197, v24, 0x3f3d2fb0, v186
	v_mul_f32_e32 v187, 0xbf7ee86f, v173
	v_dual_mul_f32 v173, 0x3eb8f4ab, v165 :: v_dual_add_f32 v98, v104, v98
	v_add_f32_e32 v193, v194, v193
	v_fma_f32 v194, 0x3ee437d1, v26, -v175
	v_fmac_f32_e32 v79, 0xbf1a4643, v28
	v_fmac_f32_e32 v67, 0xbe8c1d8e, v25
	v_dual_add_f32 v97, v98, v97 :: v_dual_fmac_f32 v66, 0x3ee437d1, v27
	s_delay_alu instid0(VALU_DEP_4) | instskip(SKIP_2) | instid1(VALU_DEP_4)
	v_add_f32_e32 v199, v194, v193
	v_mul_f32_e32 v193, 0xbeb8f4ab, v15
	v_fmamk_f32 v196, v33, 0x3f6eb680, v188
	v_dual_add_f32 v93, v97, v93 :: v_dual_fmac_f32 v64, 0xbe8c1d8e, v26
	v_fmac_f32_e32 v61, 0x3dbcf732, v25
	v_fma_f32 v200, 0x3f6eb680, v25, -v173
	s_delay_alu instid0(VALU_DEP_4) | instskip(NEXT) | instid1(VALU_DEP_4)
	v_add_f32_e32 v196, v1, v196
	v_dual_add_f32 v92, v93, v92 :: v_dual_fmac_f32 v121, 0x3dbcf732, v30
	v_fmac_f32_e32 v122, 0xbf7ba420, v32
	s_delay_alu instid0(VALU_DEP_3)
	v_dual_fmac_f32 v85, 0xbf1a4643, v29 :: v_dual_add_f32 v196, v197, v196
	v_fmamk_f32 v197, v23, 0x3ee437d1, v174
	v_fmac_f32_e32 v73, 0x3f3d2fb0, v26
	v_fmac_f32_e32 v118, 0x3f6eb680, v31
	;; [unrolled: 1-line block ×4, first 2 shown]
	v_dual_add_f32 v194, v197, v196 :: v_dual_fmamk_f32 v197, v18, 0x3f6eb680, v195
	v_fmamk_f32 v196, v22, 0x3dbcf732, v187
	v_fmac_f32_e32 v81, 0xbf59a7d5, v29
	v_fmac_f32_e32 v123, 0x3ee437d1, v31
	;; [unrolled: 1-line block ×3, first 2 shown]
	v_add_f32_e32 v15, v197, v198
	v_dual_add_f32 v198, v1, v47 :: v_dual_mul_f32 v47, 0xbf65296c, v170
	v_add_f32_e32 v196, v196, v194
	v_fma_f32 v197, 0x3f6eb680, v32, -v193
	s_delay_alu instid0(VALU_DEP_3) | instskip(NEXT) | instid1(VALU_DEP_3)
	v_dual_fmac_f32 v119, 0xbe8c1d8e, v31 :: v_dual_add_f32 v170, v198, v45
	v_dual_mul_f32 v45, 0xbf4c4adb, v163 :: v_dual_add_f32 v196, v201, v196
	s_delay_alu instid0(VALU_DEP_3) | instskip(NEXT) | instid1(VALU_DEP_3)
	v_dual_add_f32 v197, v0, v197 :: v_dual_fmac_f32 v80, 0x3f6eb680, v30
	v_add_f32_e32 v48, v170, v48
	v_fmac_f32_e32 v72, 0x3dbcf732, v28
	v_fmac_f32_e32 v68, 0xbf7ba420, v26
	;; [unrolled: 1-line block ×4, first 2 shown]
	v_add_f32_e32 v48, v48, v50
	v_mul_f32_e32 v50, 0xbf763a35, v168
	v_fmac_f32_e32 v135, 0xbe8c1d8e, v30
	v_fmac_f32_e32 v129, 0x3f3d2fb0, v30
	;; [unrolled: 1-line block ×3, first 2 shown]
	v_add_f32_e32 v52, v48, v52
	v_fmac_f32_e32 v100, 0x3ee437d1, v32
	v_dual_fmac_f32 v89, 0x3f3d2fb0, v28 :: v_dual_fmac_f32 v54, 0x3f3d2fb0, v25
	s_delay_alu instid0(VALU_DEP_3) | instskip(SKIP_3) | instid1(VALU_DEP_4)
	v_dual_fmac_f32 v107, 0x3f6eb680, v29 :: v_dual_add_f32 v52, v52, v56
	v_mul_f32_e32 v194, 0xbf2c7751, v14
	v_fmac_f32_e32 v137, 0xbf7ba420, v31
	v_fmac_f32_e32 v183, 0xbf1a4643, v30
	v_dual_fmac_f32 v108, 0x3ee437d1, v28 :: v_dual_add_f32 v59, v52, v59
	v_fmac_f32_e32 v96, 0xbf7ba420, v30
	v_fmac_f32_e32 v193, 0x3f6eb680, v32
	;; [unrolled: 1-line block ×3, first 2 shown]
	s_delay_alu instid0(VALU_DEP_4)
	v_dual_fmac_f32 v74, 0x3f6eb680, v26 :: v_dual_add_f32 v59, v59, v65
	v_mul_f32_e32 v65, 0xbe3c28d5, v130
	v_fmac_f32_e32 v82, 0xbf1a4643, v26
	v_fmac_f32_e32 v88, 0xbe8c1d8e, v29
	;; [unrolled: 1-line block ×3, first 2 shown]
	v_dual_add_f32 v62, v59, v62 :: v_dual_mul_f32 v59, 0xbe3c28d5, v165
	v_fmac_f32_e32 v177, 0x3f3d2fb0, v32
	v_fmac_f32_e32 v182, 0x3dbcf732, v31
	;; [unrolled: 1-line block ×3, first 2 shown]
	s_delay_alu instid0(VALU_DEP_4)
	v_add_f32_e32 v55, v62, v55
	v_fma_f32 v62, 0xbf7ba420, v33, -v160
	v_fmac_f32_e32 v184, 0xbf7ba420, v29
	v_fmac_f32_e32 v173, 0x3f6eb680, v25
	v_fmac_f32_e32 v175, 0x3ee437d1, v26
	v_add_f32_e32 v46, v55, v46
	v_add_f32_e32 v55, v1, v62
	v_fma_f32 v62, 0x3f6eb680, v24, -v158
	v_fmac_f32_e32 v91, 0x3dbcf732, v26
	s_delay_alu instid0(VALU_DEP_4) | instskip(SKIP_1) | instid1(VALU_DEP_4)
	v_dual_fmac_f32 v171, 0xbf59a7d5, v25 :: v_dual_add_f32 v44, v46, v44
	v_mul_f32_e32 v52, 0xbf06c442, v166
	v_add_f32_e32 v46, v62, v55
	v_fma_f32 v55, 0xbf59a7d5, v23, -v120
	v_fmac_f32_e32 v176, 0xbe8c1d8e, v27
	v_add_f32_e32 v43, v44, v43
	v_add_f32_e32 v44, v0, v122
	v_fma_f32 v93, 0xbf59a7d5, v26, -v52
	v_add_f32_e32 v46, v55, v46
	v_fma_f32 v55, 0x3f3d2fb0, v22, -v112
	v_add_f32_e32 v42, v43, v42
	v_dual_mul_f32 v56, 0xbf06c442, v147 :: v_dual_add_f32 v43, v118, v44
	v_fmac_f32_e32 v52, 0xbf59a7d5, v26
	s_delay_alu instid0(VALU_DEP_3) | instskip(SKIP_1) | instid1(VALU_DEP_4)
	v_dual_add_f32 v44, v55, v46 :: v_dual_add_f32 v41, v42, v41
	v_add_f32_e32 v84, v92, v84
	v_dual_add_f32 v14, v200, v199 :: v_dual_fmamk_f32 v97, v19, 0xbf59a7d5, v56
	v_fma_f32 v199, 0x3f3d2fb0, v31, -v194
	v_mul_f32_e32 v106, 0xbf7ee86f, v169
	s_delay_alu instid0(VALU_DEP_4)
	v_add_f32_e32 v84, v84, v17
	v_fmamk_f32 v169, v20, 0xbf1a4643, v45
	v_fma_f32 v46, 0xbf1a4643, v21, -v99
	v_add_f32_e32 v163, v199, v197
	v_fma_f32 v197, 0x3ee437d1, v30, -v47
	v_add_f32_e32 v84, v84, v16
	s_delay_alu instid0(VALU_DEP_4) | instskip(SKIP_1) | instid1(VALU_DEP_3)
	v_dual_add_f32 v42, v111, v43 :: v_dual_add_f32 v43, v46, v44
	v_fma_f32 v44, 0x3ee437d1, v20, -v83
	v_dual_add_f32 v163, v197, v163 :: v_dual_add_f32 v60, v84, v60
	v_add_f32_e32 v168, v169, v196
	v_fma_f32 v55, 0x3ee437d1, v18, -v71
	v_fmac_f32_e32 v194, 0x3f3d2fb0, v31
	v_fmac_f32_e32 v47, 0x3ee437d1, v30
	v_add_f32_e32 v53, v60, v53
	v_add_f32_e32 v97, v97, v168
	v_fma_f32 v113, 0x3dbcf732, v29, -v106
	v_fmac_f32_e32 v106, 0x3dbcf732, v29
	ds_store_2addr_b64 v40, v[14:15], v[12:13] offset0:100 offset1:150
	v_add_f32_e32 v51, v53, v51
	v_mul_f32_e32 v48, 0xbf4c4adb, v167
	v_add_f32_e32 v104, v113, v163
	v_fma_f32 v113, 0xbe8c1d8e, v28, -v50
	v_fma_f32 v53, 0xbf59a7d5, v24, -v140
	v_add_f32_e32 v49, v51, v49
	v_dual_add_f32 v51, v0, v125 :: v_dual_add_nc_u32 v12, 0xc00, v40
	s_delay_alu instid0(VALU_DEP_4) | instskip(SKIP_1) | instid1(VALU_DEP_4)
	v_add_f32_e32 v98, v113, v104
	v_fma_f32 v104, 0xbf1a4643, v27, -v48
	v_add_f32_e32 v46, v49, v39
	v_add_f32_e32 v39, v41, v35
	;; [unrolled: 1-line block ×5, first 2 shown]
	v_fma_f32 v42, 0xbe8c1d8e, v19, -v78
	v_fma_f32 v43, 0xbf59a7d5, v33, -v124
	v_dual_add_f32 v35, v79, v35 :: v_dual_add_f32 v38, v46, v38
	s_delay_alu instid0(VALU_DEP_3) | instskip(NEXT) | instid1(VALU_DEP_3)
	v_dual_add_f32 v92, v93, v98 :: v_dual_add_f32 v41, v42, v41
	v_add_f32_e32 v42, v1, v43
	v_fma_f32 v43, 0x3ee437d1, v24, -v94
	s_delay_alu instid0(VALU_DEP_4) | instskip(SKIP_2) | instid1(VALU_DEP_4)
	v_add_f32_e32 v35, v66, v35
	v_fma_f32 v46, 0x3dbcf732, v18, -v57
	v_fma_f32 v49, 0xbf1a4643, v22, -v134
	v_dual_fmamk_f32 v93, v18, 0xbf7ba420, v65 :: v_dual_add_f32 v42, v43, v42
	v_fma_f32 v43, 0x3dbcf732, v23, -v136
	v_add_f32_e32 v35, v64, v35
	v_add_f32_e32 v51, v119, v51
	s_delay_alu instid0(VALU_DEP_4)
	v_add_f32_e32 v17, v93, v97
	v_fma_f32 v93, 0xbf7ba420, v25, -v59
	v_dual_add_f32 v43, v43, v42 :: v_dual_add_f32 v42, v46, v41
	v_fma_f32 v46, 0x3f6eb680, v21, -v131
	v_add_f32_e32 v41, v61, v35
	v_fma_f32 v35, 0xbf1a4643, v33, -v143
	s_delay_alu instid0(VALU_DEP_4)
	v_add_f32_e32 v43, v49, v43
	v_add_f32_e32 v16, v93, v92
	v_fma_f32 v49, 0xbe8c1d8e, v24, -v138
	v_add_f32_e32 v51, v80, v51
	v_add_f32_e32 v35, v1, v35
	;; [unrolled: 1-line block ×3, first 2 shown]
	v_fma_f32 v46, 0xbf7ba420, v20, -v101
	s_delay_alu instid0(VALU_DEP_4) | instskip(NEXT) | instid1(VALU_DEP_4)
	v_dual_fmac_f32 v132, 0xbf59a7d5, v32 :: v_dual_add_f32 v51, v81, v51
	v_add_f32_e32 v35, v49, v35
	v_fma_f32 v49, 0x3f6eb680, v23, -v162
	s_delay_alu instid0(VALU_DEP_3) | instskip(SKIP_2) | instid1(VALU_DEP_4)
	v_dual_add_f32 v43, v46, v43 :: v_dual_add_f32 v44, v0, v132
	v_fma_f32 v46, 0x3f3d2fb0, v19, -v102
	v_add_f32_e32 v51, v72, v51
	v_dual_add_f32 v35, v49, v35 :: v_dual_fmac_f32 v50, 0xbe8c1d8e, v28
	s_delay_alu instid0(VALU_DEP_3) | instskip(SKIP_3) | instid1(VALU_DEP_4)
	v_dual_add_f32 v44, v123, v44 :: v_dual_add_f32 v43, v46, v43
	v_fma_f32 v46, 0xbf59a7d5, v22, -v156
	v_fmac_f32_e32 v95, 0xbf1a4643, v31
	v_fma_f32 v57, 0x3dbcf732, v24, -v180
	v_add_f32_e32 v44, v121, v44
	v_fmac_f32_e32 v48, 0xbf1a4643, v27
	v_add_f32_e32 v35, v46, v35
	v_fma_f32 v46, 0x3dbcf732, v21, -v153
	v_fmac_f32_e32 v86, 0x3f6eb680, v28
	v_dual_add_f32 v44, v85, v44 :: v_dual_fmac_f32 v59, 0xbf7ba420, v25
	ds_store_2addr_b64 v40, v[38:39], v[16:17] offset1:50
	v_add_f32_e32 v35, v46, v35
	v_fma_f32 v46, 0x3f3d2fb0, v20, -v151
	v_add_f32_e32 v44, v86, v44
	v_add_nc_u32_e32 v16, 0x800, v40
	v_add_nc_u32_e32 v13, 0x1000, v40
	s_delay_alu instid0(VALU_DEP_3) | instskip(SKIP_1) | instid1(VALU_DEP_2)
	v_dual_add_f32 v35, v46, v35 :: v_dual_add_f32 v44, v87, v44
	v_fma_f32 v46, 0xbf7ba420, v19, -v115
	v_add_f32_e32 v49, v73, v44
	v_fma_f32 v44, 0xbe8c1d8e, v18, -v75
	s_delay_alu instid0(VALU_DEP_1) | instskip(SKIP_1) | instid1(VALU_DEP_1)
	v_dual_add_f32 v44, v44, v43 :: v_dual_add_f32 v43, v67, v49
	v_fma_f32 v49, 0xbe8c1d8e, v33, -v148
	v_add_f32_e32 v49, v1, v49
	s_delay_alu instid0(VALU_DEP_1) | instskip(SKIP_1) | instid1(VALU_DEP_2)
	v_dual_add_f32 v35, v46, v35 :: v_dual_add_f32 v46, v53, v49
	v_fma_f32 v49, 0x3f3d2fb0, v23, -v157
	v_add_f32_e32 v61, v55, v35
	v_fma_f32 v55, 0xbf1a4643, v18, -v77
	s_delay_alu instid0(VALU_DEP_3) | instskip(SKIP_2) | instid1(VALU_DEP_2)
	v_add_f32_e32 v46, v49, v46
	v_fma_f32 v49, 0x3ee437d1, v22, -v154
	v_dual_fmac_f32 v139, 0xbe8c1d8e, v32 :: v_dual_add_f32 v32, v0, v177
	v_add_f32_e32 v46, v49, v46
	v_fma_f32 v49, 0xbf7ba420, v21, -v152
	v_fmac_f32_e32 v69, 0x3f3d2fb0, v27
	s_delay_alu instid0(VALU_DEP_2) | instskip(SKIP_2) | instid1(VALU_DEP_4)
	v_dual_add_f32 v53, v0, v139 :: v_dual_add_f32 v46, v49, v46
	v_fma_f32 v49, 0x3dbcf732, v20, -v150
	v_fmac_f32_e32 v133, 0xbf59a7d5, v31
	v_add_f32_e32 v51, v69, v51
	s_delay_alu instid0(VALU_DEP_3) | instskip(SKIP_1) | instid1(VALU_DEP_1)
	v_dual_add_f32 v31, v182, v32 :: v_dual_add_f32 v46, v49, v46
	v_fma_f32 v49, 0x3f6eb680, v19, -v149
	v_dual_add_f32 v51, v68, v51 :: v_dual_add_f32 v46, v49, v46
	v_fmac_f32_e32 v70, 0xbf1a4643, v25
	v_fmac_f32_e32 v63, 0x3ee437d1, v25
	s_delay_alu instid0(VALU_DEP_1) | instskip(NEXT) | instid1(VALU_DEP_1)
	v_dual_add_f32 v53, v133, v53 :: v_dual_add_f32 v60, v63, v51
	v_add_f32_e32 v53, v129, v53
	v_fma_f32 v51, 0x3dbcf732, v33, -v144
	v_add_f32_e32 v63, v55, v46
	v_add_f32_e32 v55, v0, v100
	s_delay_alu instid0(VALU_DEP_4) | instskip(SKIP_4) | instid1(VALU_DEP_4)
	v_add_f32_e32 v35, v126, v53
	v_add_f32_e32 v53, v0, v142
	;; [unrolled: 1-line block ×3, first 2 shown]
	v_fma_f32 v51, 0xbf7ba420, v24, -v110
	v_dual_add_f32 v55, v95, v55 :: v_dual_add_f32 v0, v0, v193
	v_add_f32_e32 v53, v137, v53
	s_delay_alu instid0(VALU_DEP_2) | instskip(SKIP_1) | instid1(VALU_DEP_3)
	v_dual_add_f32 v49, v51, v49 :: v_dual_add_f32 v64, v96, v55
	v_fma_f32 v51, 0xbe8c1d8e, v23, -v146
	v_add_f32_e32 v46, v135, v53
	v_fma_f32 v53, 0xbf1a4643, v24, -v155
	v_add_f32_e32 v0, v194, v0
	;; [unrolled: 2-line block ×3, first 2 shown]
	v_dual_add_f32 v46, v107, v46 :: v_dual_fmac_f32 v103, 0xbf7ba420, v28
	v_fma_f32 v51, 0x3f6eb680, v22, -v145
	v_add_f32_e32 v0, v47, v0
	v_fma_f32 v55, 0x3f3d2fb0, v18, -v58
	s_delay_alu instid0(VALU_DEP_4) | instskip(NEXT) | instid1(VALU_DEP_4)
	v_dual_add_f32 v46, v108, v46 :: v_dual_add_f32 v35, v103, v35
	v_add_f32_e32 v49, v51, v49
	v_fma_f32 v51, 0x3ee437d1, v21, -v141
	v_add_f32_e32 v0, v106, v0
	s_delay_alu instid0(VALU_DEP_4) | instskip(NEXT) | instid1(VALU_DEP_3)
	v_dual_add_f32 v46, v109, v46 :: v_dual_add_f32 v35, v76, v35
	v_add_f32_e32 v49, v51, v49
	v_fma_f32 v51, 0xbf59a7d5, v20, -v116
	s_delay_alu instid0(VALU_DEP_4) | instskip(NEXT) | instid1(VALU_DEP_4)
	v_add_f32_e32 v0, v50, v0
	v_add_f32_e32 v35, v74, v35
	s_delay_alu instid0(VALU_DEP_3) | instskip(SKIP_1) | instid1(VALU_DEP_3)
	v_dual_add_f32 v46, v82, v46 :: v_dual_add_f32 v49, v51, v49
	v_fma_f32 v51, 0xbf1a4643, v19, -v117
	v_add_f32_e32 v62, v70, v35
	v_fma_f32 v35, 0x3ee437d1, v33, -v159
	v_add_f32_e32 v0, v48, v0
	s_delay_alu instid0(VALU_DEP_4) | instskip(SKIP_1) | instid1(VALU_DEP_4)
	v_dual_add_f32 v54, v54, v46 :: v_dual_add_f32 v49, v51, v49
	v_fma_f32 v51, 0xbe8c1d8e, v22, -v161
	v_add_f32_e32 v35, v1, v35
	s_delay_alu instid0(VALU_DEP_1) | instskip(SKIP_1) | instid1(VALU_DEP_1)
	v_add_f32_e32 v35, v53, v35
	v_fma_f32 v53, 0xbf7ba420, v23, -v164
	v_add_f32_e32 v35, v53, v35
	v_fma_f32 v53, 0x3f3d2fb0, v33, -v181
	v_fma_f32 v33, 0x3f6eb680, v33, -v188
	s_delay_alu instid0(VALU_DEP_3) | instskip(NEXT) | instid1(VALU_DEP_3)
	v_add_f32_e32 v35, v51, v35
	v_add_f32_e32 v53, v1, v53
	v_fma_f32 v51, 0x3f3d2fb0, v21, -v127
	s_delay_alu instid0(VALU_DEP_4) | instskip(NEXT) | instid1(VALU_DEP_3)
	v_add_f32_e32 v1, v1, v33
	v_add_f32_e32 v53, v57, v53
	s_delay_alu instid0(VALU_DEP_3)
	v_add_f32_e32 v35, v51, v35
	v_fma_f32 v51, 0x3f6eb680, v20, -v128
	v_fma_f32 v57, 0xbf1a4643, v23, -v179
	v_add_f32_e32 v1, v24, v1
	v_fma_f32 v23, 0x3ee437d1, v23, -v174
	v_add_f32_e32 v24, v183, v31
	v_add_f32_e32 v35, v51, v35
	;; [unrolled: 1-line block ×3, first 2 shown]
	v_fma_f32 v53, 0xbf7ba420, v22, -v189
	v_add_f32_e32 v1, v23, v1
	v_fma_f32 v22, 0x3dbcf732, v22, -v187
	v_add_f32_e32 v23, v184, v24
	v_add_f32_e32 v55, v55, v49
	;; [unrolled: 1-line block ×3, first 2 shown]
	v_fma_f32 v53, 0xbf59a7d5, v21, -v190
	v_add_f32_e32 v1, v22, v1
	v_fma_f32 v21, 0xbe8c1d8e, v21, -v172
	v_add_f32_e32 v22, v185, v23
	;; [unrolled: 2-line block ×5, first 2 shown]
	v_add_f32_e32 v49, v88, v64
	v_add_f32_e32 v51, v53, v51
	v_fma_f32 v53, 0x3ee437d1, v19, -v192
	v_add_f32_e32 v1, v20, v1
	v_add_f32_e32 v20, v175, v21
	;; [unrolled: 1-line block ×3, first 2 shown]
	v_fma_f32 v19, 0xbf59a7d5, v19, -v56
	v_add_f32_e32 v21, v52, v0
	s_delay_alu instid0(VALU_DEP_4) | instskip(SKIP_3) | instid1(VALU_DEP_2)
	v_add_f32_e32 v0, v173, v20
	v_add_f32_e32 v35, v57, v35
	v_fma_f32 v57, 0xbf59a7d5, v18, -v178
	v_add_f32_e32 v49, v90, v49
	v_dual_add_f32 v19, v19, v1 :: v_dual_add_f32 v46, v57, v35
	s_delay_alu instid0(VALU_DEP_2) | instskip(SKIP_3) | instid1(VALU_DEP_4)
	v_add_f32_e32 v35, v91, v49
	v_add_f32_e32 v49, v53, v51
	v_fma_f32 v51, 0x3f6eb680, v18, -v195
	v_fma_f32 v18, 0xbf7ba420, v18, -v65
	v_add_f32_e32 v45, v171, v35
	s_delay_alu instid0(VALU_DEP_3) | instskip(NEXT) | instid1(VALU_DEP_3)
	v_add_f32_e32 v1, v51, v49
	v_dual_add_f32 v19, v18, v19 :: v_dual_add_f32 v18, v59, v21
	ds_store_2addr_b64 v40, v[10:11], v[8:9] offset0:200 offset1:250
	ds_store_2addr_b64 v16, v[6:7], v[4:5] offset0:44 offset1:94
	ds_store_2addr_b64 v16, v[2:3], v[41:42] offset0:144 offset1:194
	ds_store_2addr_b64 v12, v[43:44], v[60:61] offset0:116 offset1:166
	ds_store_2addr_b64 v13, v[62:63], v[54:55] offset0:88 offset1:138
	ds_store_2addr_b64 v13, v[45:46], v[0:1] offset0:188 offset1:238
	ds_store_b64 v40, v[18:19] offset:6400
.LBB0_21:
	s_wait_alu 0xfffe
	s_or_b32 exec_lo, exec_lo, s1
	global_wb scope:SCOPE_SE
	s_wait_dscnt 0x0
	s_barrier_signal -1
	s_barrier_wait -1
	global_inv scope:SCOPE_SE
	s_and_saveexec_b32 s0, vcc_lo
	s_cbranch_execz .LBB0_23
; %bb.22:
	v_dual_mov_b32 v35, 0 :: v_dual_add_nc_u32 v6, 0x55, v34
	v_lshl_add_u32 v20, v34, 3, 0
	v_add_co_u32 v24, vcc_lo, s8, v36
	s_delay_alu instid0(VALU_DEP_3)
	v_lshlrev_b64_e32 v[4:5], 3, v[34:35]
	s_wait_alu 0xfffd
	v_add_co_ci_u32_e32 v25, vcc_lo, s9, v37, vcc_lo
	v_dual_mov_b32 v7, v35 :: v_dual_add_nc_u32 v8, 0xaa, v34
	ds_load_2addr_b64 v[0:3], v20 offset1:85
	v_add_co_u32 v10, vcc_lo, v24, v4
	v_dual_mov_b32 v9, v35 :: v_dual_add_nc_u32 v14, 0xff, v34
	s_wait_alu 0xfffd
	v_add_co_ci_u32_e32 v11, vcc_lo, v25, v5, vcc_lo
	v_lshlrev_b64_e32 v[12:13], 3, v[6:7]
	ds_load_2addr_b64 v[4:7], v20 offset0:170 offset1:255
	v_dual_mov_b32 v15, v35 :: v_dual_add_nc_u32 v16, 0x154, v34
	v_lshlrev_b64_e32 v[8:9], 3, v[8:9]
	v_dual_mov_b32 v17, v35 :: v_dual_add_nc_u32 v18, 0x800, v20
	v_add_co_u32 v12, vcc_lo, v24, v12
	s_delay_alu instid0(VALU_DEP_4)
	v_lshlrev_b64_e32 v[14:15], 3, v[14:15]
	s_wait_alu 0xfffd
	v_add_co_ci_u32_e32 v13, vcc_lo, v25, v13, vcc_lo
	v_add_co_u32 v8, vcc_lo, v24, v8
	s_wait_alu 0xfffd
	v_add_co_ci_u32_e32 v9, vcc_lo, v25, v9, vcc_lo
	v_add_co_u32 v14, vcc_lo, v24, v14
	s_wait_alu 0xfffd
	v_add_co_ci_u32_e32 v15, vcc_lo, v25, v15, vcc_lo
	s_wait_dscnt 0x1
	s_clause 0x1
	global_store_b64 v[10:11], v[0:1], off
	global_store_b64 v[12:13], v[2:3], off
	s_wait_dscnt 0x0
	s_clause 0x1
	global_store_b64 v[8:9], v[4:5], off
	global_store_b64 v[14:15], v[6:7], off
	v_dual_mov_b32 v5, v35 :: v_dual_add_nc_u32 v4, 0x1a9, v34
	v_lshlrev_b64_e32 v[16:17], 3, v[16:17]
	v_dual_mov_b32 v9, v35 :: v_dual_add_nc_u32 v8, 0x1fe, v34
	v_dual_mov_b32 v11, v35 :: v_dual_add_nc_u32 v6, 0xc00, v20
	s_delay_alu instid0(VALU_DEP_4)
	v_lshlrev_b64_e32 v[4:5], 3, v[4:5]
	v_dual_mov_b32 v19, v35 :: v_dual_add_nc_u32 v10, 0x253, v34
	v_add_co_u32 v12, vcc_lo, v24, v16
	v_lshlrev_b64_e32 v[8:9], 3, v[8:9]
	s_wait_alu 0xfffd
	v_add_co_ci_u32_e32 v13, vcc_lo, v25, v17, vcc_lo
	v_add_co_u32 v14, vcc_lo, v24, v4
	v_lshlrev_b64_e32 v[16:17], 3, v[10:11]
	v_add_nc_u32_e32 v10, 0x1000, v20
	ds_load_2addr_b64 v[0:3], v18 offset0:84 offset1:169
	s_wait_alu 0xfffd
	v_add_co_ci_u32_e32 v15, vcc_lo, v25, v5, vcc_lo
	ds_load_2addr_b64 v[4:7], v6 offset0:126 offset1:211
	v_add_co_u32 v20, vcc_lo, v24, v8
	v_add_nc_u32_e32 v18, 0x2a8, v34
	s_wait_alu 0xfffd
	v_add_co_ci_u32_e32 v21, vcc_lo, v25, v9, vcc_lo
	ds_load_2addr_b64 v[8:11], v10 offset0:168 offset1:253
	v_add_nc_u32_e32 v34, 0x2fd, v34
	v_lshlrev_b64_e32 v[18:19], 3, v[18:19]
	v_add_co_u32 v16, vcc_lo, v24, v16
	s_wait_alu 0xfffd
	v_add_co_ci_u32_e32 v17, vcc_lo, v25, v17, vcc_lo
	v_lshlrev_b64_e32 v[22:23], 3, v[34:35]
	s_delay_alu instid0(VALU_DEP_4) | instskip(SKIP_2) | instid1(VALU_DEP_3)
	v_add_co_u32 v18, vcc_lo, v24, v18
	s_wait_alu 0xfffd
	v_add_co_ci_u32_e32 v19, vcc_lo, v25, v19, vcc_lo
	v_add_co_u32 v22, vcc_lo, v24, v22
	s_wait_alu 0xfffd
	v_add_co_ci_u32_e32 v23, vcc_lo, v25, v23, vcc_lo
	s_wait_dscnt 0x2
	s_clause 0x1
	global_store_b64 v[12:13], v[0:1], off
	global_store_b64 v[14:15], v[2:3], off
	s_wait_dscnt 0x1
	s_clause 0x1
	global_store_b64 v[20:21], v[4:5], off
	global_store_b64 v[16:17], v[6:7], off
	;; [unrolled: 4-line block ×3, first 2 shown]
.LBB0_23:
	s_nop 0
	s_sendmsg sendmsg(MSG_DEALLOC_VGPRS)
	s_endpgm
	.section	.rodata,"a",@progbits
	.p2align	6, 0x0
	.amdhsa_kernel fft_rtc_fwd_len850_factors_10_5_17_wgs_85_tpt_85_sp_ip_CI_unitstride_sbrr_C2R_dirReg
		.amdhsa_group_segment_fixed_size 0
		.amdhsa_private_segment_fixed_size 0
		.amdhsa_kernarg_size 88
		.amdhsa_user_sgpr_count 2
		.amdhsa_user_sgpr_dispatch_ptr 0
		.amdhsa_user_sgpr_queue_ptr 0
		.amdhsa_user_sgpr_kernarg_segment_ptr 1
		.amdhsa_user_sgpr_dispatch_id 0
		.amdhsa_user_sgpr_private_segment_size 0
		.amdhsa_wavefront_size32 1
		.amdhsa_uses_dynamic_stack 0
		.amdhsa_enable_private_segment 0
		.amdhsa_system_sgpr_workgroup_id_x 1
		.amdhsa_system_sgpr_workgroup_id_y 0
		.amdhsa_system_sgpr_workgroup_id_z 0
		.amdhsa_system_sgpr_workgroup_info 0
		.amdhsa_system_vgpr_workitem_id 0
		.amdhsa_next_free_vgpr 211
		.amdhsa_next_free_sgpr 32
		.amdhsa_reserve_vcc 1
		.amdhsa_float_round_mode_32 0
		.amdhsa_float_round_mode_16_64 0
		.amdhsa_float_denorm_mode_32 3
		.amdhsa_float_denorm_mode_16_64 3
		.amdhsa_fp16_overflow 0
		.amdhsa_workgroup_processor_mode 1
		.amdhsa_memory_ordered 1
		.amdhsa_forward_progress 0
		.amdhsa_round_robin_scheduling 0
		.amdhsa_exception_fp_ieee_invalid_op 0
		.amdhsa_exception_fp_denorm_src 0
		.amdhsa_exception_fp_ieee_div_zero 0
		.amdhsa_exception_fp_ieee_overflow 0
		.amdhsa_exception_fp_ieee_underflow 0
		.amdhsa_exception_fp_ieee_inexact 0
		.amdhsa_exception_int_div_zero 0
	.end_amdhsa_kernel
	.text
.Lfunc_end0:
	.size	fft_rtc_fwd_len850_factors_10_5_17_wgs_85_tpt_85_sp_ip_CI_unitstride_sbrr_C2R_dirReg, .Lfunc_end0-fft_rtc_fwd_len850_factors_10_5_17_wgs_85_tpt_85_sp_ip_CI_unitstride_sbrr_C2R_dirReg
                                        ; -- End function
	.section	.AMDGPU.csdata,"",@progbits
; Kernel info:
; codeLenInByte = 11316
; NumSgprs: 34
; NumVgprs: 211
; ScratchSize: 0
; MemoryBound: 0
; FloatMode: 240
; IeeeMode: 1
; LDSByteSize: 0 bytes/workgroup (compile time only)
; SGPRBlocks: 4
; VGPRBlocks: 26
; NumSGPRsForWavesPerEU: 34
; NumVGPRsForWavesPerEU: 211
; Occupancy: 7
; WaveLimiterHint : 1
; COMPUTE_PGM_RSRC2:SCRATCH_EN: 0
; COMPUTE_PGM_RSRC2:USER_SGPR: 2
; COMPUTE_PGM_RSRC2:TRAP_HANDLER: 0
; COMPUTE_PGM_RSRC2:TGID_X_EN: 1
; COMPUTE_PGM_RSRC2:TGID_Y_EN: 0
; COMPUTE_PGM_RSRC2:TGID_Z_EN: 0
; COMPUTE_PGM_RSRC2:TIDIG_COMP_CNT: 0
	.text
	.p2alignl 7, 3214868480
	.fill 96, 4, 3214868480
	.type	__hip_cuid_14bcb913390f7b19,@object ; @__hip_cuid_14bcb913390f7b19
	.section	.bss,"aw",@nobits
	.globl	__hip_cuid_14bcb913390f7b19
__hip_cuid_14bcb913390f7b19:
	.byte	0                               ; 0x0
	.size	__hip_cuid_14bcb913390f7b19, 1

	.ident	"AMD clang version 19.0.0git (https://github.com/RadeonOpenCompute/llvm-project roc-6.4.0 25133 c7fe45cf4b819c5991fe208aaa96edf142730f1d)"
	.section	".note.GNU-stack","",@progbits
	.addrsig
	.addrsig_sym __hip_cuid_14bcb913390f7b19
	.amdgpu_metadata
---
amdhsa.kernels:
  - .args:
      - .actual_access:  read_only
        .address_space:  global
        .offset:         0
        .size:           8
        .value_kind:     global_buffer
      - .offset:         8
        .size:           8
        .value_kind:     by_value
      - .actual_access:  read_only
        .address_space:  global
        .offset:         16
        .size:           8
        .value_kind:     global_buffer
      - .actual_access:  read_only
        .address_space:  global
        .offset:         24
        .size:           8
        .value_kind:     global_buffer
      - .offset:         32
        .size:           8
        .value_kind:     by_value
      - .actual_access:  read_only
        .address_space:  global
        .offset:         40
        .size:           8
        .value_kind:     global_buffer
      - .actual_access:  read_only
        .address_space:  global
        .offset:         48
        .size:           8
        .value_kind:     global_buffer
      - .offset:         56
        .size:           4
        .value_kind:     by_value
      - .actual_access:  read_only
        .address_space:  global
        .offset:         64
        .size:           8
        .value_kind:     global_buffer
      - .actual_access:  read_only
        .address_space:  global
        .offset:         72
        .size:           8
        .value_kind:     global_buffer
      - .address_space:  global
        .offset:         80
        .size:           8
        .value_kind:     global_buffer
    .group_segment_fixed_size: 0
    .kernarg_segment_align: 8
    .kernarg_segment_size: 88
    .language:       OpenCL C
    .language_version:
      - 2
      - 0
    .max_flat_workgroup_size: 85
    .name:           fft_rtc_fwd_len850_factors_10_5_17_wgs_85_tpt_85_sp_ip_CI_unitstride_sbrr_C2R_dirReg
    .private_segment_fixed_size: 0
    .sgpr_count:     34
    .sgpr_spill_count: 0
    .symbol:         fft_rtc_fwd_len850_factors_10_5_17_wgs_85_tpt_85_sp_ip_CI_unitstride_sbrr_C2R_dirReg.kd
    .uniform_work_group_size: 1
    .uses_dynamic_stack: false
    .vgpr_count:     211
    .vgpr_spill_count: 0
    .wavefront_size: 32
    .workgroup_processor_mode: 1
amdhsa.target:   amdgcn-amd-amdhsa--gfx1201
amdhsa.version:
  - 1
  - 2
...

	.end_amdgpu_metadata
